;; amdgpu-corpus repo=ROCm/rocBLAS kind=compiled arch=gfx1250 opt=O3
	.amdgcn_target "amdgcn-amd-amdhsa--gfx1250"
	.amdhsa_code_object_version 6
	.section	.text._ZL32rocblas_iamax_iamin_kernel_part1ILi1024E23rocblas_fetch_amax_aminIfE19rocblas_reduce_amaxPKf21rocblas_index_value_tIfEEviiT2_liliPT3_,"axG",@progbits,_ZL32rocblas_iamax_iamin_kernel_part1ILi1024E23rocblas_fetch_amax_aminIfE19rocblas_reduce_amaxPKf21rocblas_index_value_tIfEEviiT2_liliPT3_,comdat
	.globl	_ZL32rocblas_iamax_iamin_kernel_part1ILi1024E23rocblas_fetch_amax_aminIfE19rocblas_reduce_amaxPKf21rocblas_index_value_tIfEEviiT2_liliPT3_ ; -- Begin function _ZL32rocblas_iamax_iamin_kernel_part1ILi1024E23rocblas_fetch_amax_aminIfE19rocblas_reduce_amaxPKf21rocblas_index_value_tIfEEviiT2_liliPT3_
	.p2align	8
	.type	_ZL32rocblas_iamax_iamin_kernel_part1ILi1024E23rocblas_fetch_amax_aminIfE19rocblas_reduce_amaxPKf21rocblas_index_value_tIfEEviiT2_liliPT3_,@function
_ZL32rocblas_iamax_iamin_kernel_part1ILi1024E23rocblas_fetch_amax_aminIfE19rocblas_reduce_amaxPKf21rocblas_index_value_tIfEEviiT2_liliPT3_: ; @_ZL32rocblas_iamax_iamin_kernel_part1ILi1024E23rocblas_fetch_amax_aminIfE19rocblas_reduce_amaxPKf21rocblas_index_value_tIfEEviiT2_liliPT3_
; %bb.0:
	s_load_b32 s14, s[0:1], 0x28
	s_bfe_u32 s2, ttmp6, 0x40014
	s_lshr_b32 s3, ttmp7, 16
	s_add_co_i32 s2, s2, 1
	s_bfe_u32 s5, ttmp6, 0x40008
	s_mul_i32 s4, s3, s2
	s_getreg_b32 s2, hwreg(HW_REG_IB_STS2, 6, 4)
	s_add_co_i32 s5, s5, s4
	s_cmp_eq_u32 s2, 0
	s_mov_b32 s9, 0
	s_cselect_b32 s8, s3, s5
	s_wait_kmcnt 0x0
	s_cmp_ge_u32 s8, s14
	s_cbranch_scc1 .LBB0_47
; %bb.1:
	s_clause 0x1
	s_load_b32 s16, s[0:1], 0x18
	s_load_b128 s[4:7], s[0:1], 0x8
	s_bfe_u32 s3, ttmp6, 0x4000c
	s_and_b32 s15, ttmp6, 15
	s_add_co_i32 s3, s3, 1
	v_dual_mov_b32 v3, 0 :: v_dual_bitop2_b32 v8, 31, v0 bitop3:0x40
	s_mul_i32 s3, ttmp9, s3
	v_mbcnt_lo_u32_b32 v11, -1, 0
	s_add_co_i32 s15, s15, s3
	s_clause 0x1
	s_load_b64 s[10:11], s[0:1], 0x20
	s_load_b64 s[12:13], s[0:1], 0x30
	v_cmp_gt_u32_e32 vcc_lo, 32, v0
	v_lshl_or_b32 v7, v11, 2, 64
	s_wait_kmcnt 0x0
	s_ashr_i32 s17, s16, 31
	s_lshl_b64 s[6:7], s[6:7], 2
	s_cmp_eq_u32 s2, 0
	s_load_b64 s[2:3], s[0:1], 0x0
	s_cselect_b32 s15, ttmp9, s15
	s_wait_xcnt 0x0
	v_cmp_gt_u32_e64 s1, 24, v11
	v_lshl_or_b32 v2, s15, 10, v0
	v_cmp_eq_u32_e64 s0, 0, v0
	s_add_nc_u64 s[4:5], s[4:5], s[6:7]
	v_lshlrev_b32_e32 v6, 3, v8
	v_cndmask_b32_e64 v10, 0, 8, s1
	v_mul_u64_e32 v[4:5], s[16:17], v[2:3]
	v_cmp_gt_u32_e64 s1, 28, v11
	s_delay_alu instid0(VALU_DEP_1) | instskip(SKIP_1) | instid1(VALU_DEP_1)
	v_cndmask_b32_e64 v12, 0, 4, s1
	v_cmp_gt_u32_e64 s1, 30, v11
	v_cndmask_b32_e64 v13, 0, 2, s1
	v_cmp_ne_u32_e64 s1, 31, v11
	s_wait_kmcnt 0x0
	s_mov_b32 s16, s2
	s_ashr_i32 s17, s2, 31
	s_lshl_b32 s7, s3, 16
	v_cmp_gt_i64_e64 s2, s[16:17], v[2:3]
	v_add_co_ci_u32_e64 v14, null, 0, v11, s1
	v_lshrrev_b32_e32 v9, 2, v0
	v_mov_b64_e32 v[0:1], 0
	v_cmp_eq_u32_e64 s1, 0, v8
	s_delay_alu instid0(VALU_DEP_3)
	v_and_b32_e32 v8, 0xf8, v9
	v_add_lshl_u32 v9, v10, v11, 2
	v_add_lshl_u32 v10, v12, v11, 2
	;; [unrolled: 1-line block ×3, first 2 shown]
	v_lshlrev_b32_e32 v12, 2, v14
	v_add_nc_u32_e32 v13, 1, v2
	v_lshl_add_u64 v[2:3], v[4:5], 2, s[4:5]
	s_mul_i32 s4, s8, s3
	s_delay_alu instid0(SALU_CYCLE_1)
	s_add_co_i32 s6, s15, s4
	s_branch .LBB0_3
.LBB0_2:                                ;   in Loop: Header=BB0_3 Depth=1
	s_wait_xcnt 0x0
	s_or_b32 exec_lo, exec_lo, s3
	s_add_co_i32 s8, s8, 0x10000
	s_add_co_i32 s6, s6, s7
	s_cmp_lt_u32 s8, s14
	s_cbranch_scc0 .LBB0_47
.LBB0_3:                                ; =>This Inner Loop Header: Depth=1
	s_wait_dscnt 0x0
	v_mov_b32_e32 v4, 0
	s_and_saveexec_b32 s4, s2
	s_cbranch_execz .LBB0_5
; %bb.4:                                ;   in Loop: Header=BB0_3 Depth=1
	s_mul_u64 s[16:17], s[10:11], s[8:9]
	s_delay_alu instid0(SALU_CYCLE_1) | instskip(SKIP_4) | instid1(VALU_DEP_1)
	v_lshl_add_u64 v[4:5], s[16:17], 2, v[2:3]
	global_load_b32 v4, v[4:5], off
	s_wait_loadcnt 0x0
	v_cmp_gt_f32_e64 s3, 0, v4
	s_wait_xcnt 0x0
	v_dual_cndmask_b32 v5, v4, -v4, s3 :: v_dual_mov_b32 v4, v13
.LBB0_5:                                ;   in Loop: Header=BB0_3 Depth=1
	s_or_b32 exec_lo, exec_lo, s4
	s_and_saveexec_b32 s3, vcc_lo
; %bb.6:                                ;   in Loop: Header=BB0_3 Depth=1
	ds_store_b64 v6, v[0:1]
; %bb.7:                                ;   in Loop: Header=BB0_3 Depth=1
	s_or_b32 exec_lo, exec_lo, s3
	ds_bpermute_b32 v14, v7, v4
	ds_bpermute_b32 v15, v7, v5
	s_mov_b32 s15, exec_lo
	s_wait_dscnt 0x0
	s_barrier_signal -1
	s_barrier_wait -1
	v_cmpx_ne_u32_e32 0, v14
; %bb.8:                                ;   in Loop: Header=BB0_3 Depth=1
	v_cmp_eq_u32_e64 s3, 0, v4
	v_cmp_lt_f32_e64 s4, v5, v15
	v_cmp_eq_f32_e64 s5, v5, v15
	s_or_b32 s3, s3, s4
	s_delay_alu instid0(SALU_CYCLE_1) | instskip(NEXT) | instid1(VALU_DEP_1)
	v_dual_cndmask_b32 v5, v5, v15, s3 :: v_dual_min_i32 v16, v14, v4
	v_cndmask_b32_e64 v4, v4, v16, s5
	s_delay_alu instid0(VALU_DEP_1)
	v_cndmask_b32_e64 v4, v4, v14, s3
; %bb.9:                                ;   in Loop: Header=BB0_3 Depth=1
	s_or_b32 exec_lo, exec_lo, s15
	ds_bpermute_b32 v15, v9, v4
	ds_bpermute_b32 v16, v9, v5
	v_mov_b32_e32 v14, v5
	s_mov_b32 s5, exec_lo
	s_wait_dscnt 0x1
	v_cmpx_ne_u32_e32 0, v15
	s_cbranch_execz .LBB0_13
; %bb.10:                               ;   in Loop: Header=BB0_3 Depth=1
	v_cmp_ne_u32_e64 s3, 0, v4
	s_wait_dscnt 0x0
	v_cmp_nlt_f32_e64 s4, v5, v16
	s_and_b32 s3, s3, s4
	s_delay_alu instid0(SALU_CYCLE_1)
	s_and_saveexec_b32 s4, s3
; %bb.11:                               ;   in Loop: Header=BB0_3 Depth=1
	v_min_i32_e32 v14, v15, v4
	v_cmp_eq_f32_e64 s3, v5, v16
	s_delay_alu instid0(VALU_DEP_1)
	v_dual_mov_b32 v16, v5 :: v_dual_cndmask_b32 v15, v4, v14, s3
; %bb.12:                               ;   in Loop: Header=BB0_3 Depth=1
	s_or_b32 exec_lo, exec_lo, s4
	s_delay_alu instid0(VALU_DEP_1)
	v_dual_mov_b32 v5, v16 :: v_dual_mov_b32 v4, v15
	v_mov_b32_e32 v14, v16
.LBB0_13:                               ;   in Loop: Header=BB0_3 Depth=1
	s_or_b32 exec_lo, exec_lo, s5
	ds_bpermute_b32 v15, v10, v4
	s_wait_dscnt 0x1
	ds_bpermute_b32 v16, v10, v5
	s_mov_b32 s5, exec_lo
	s_wait_dscnt 0x1
	v_cmpx_ne_u32_e32 0, v15
	s_cbranch_execz .LBB0_17
; %bb.14:                               ;   in Loop: Header=BB0_3 Depth=1
	v_cmp_ne_u32_e64 s3, 0, v4
	s_wait_dscnt 0x0
	v_cmp_nlt_f32_e64 s4, v14, v16
	v_mov_b32_e32 v17, v16
	s_and_b32 s3, s3, s4
	s_delay_alu instid0(SALU_CYCLE_1)
	s_and_saveexec_b32 s4, s3
; %bb.15:                               ;   in Loop: Header=BB0_3 Depth=1
	v_dual_mov_b32 v17, v14 :: v_dual_min_i32 v15, v15, v4
	v_cmp_eq_f32_e64 s3, v14, v16
	s_delay_alu instid0(VALU_DEP_1)
	v_dual_mov_b32 v16, v5 :: v_dual_cndmask_b32 v15, v4, v15, s3
; %bb.16:                               ;   in Loop: Header=BB0_3 Depth=1
	s_or_b32 exec_lo, exec_lo, s4
	s_delay_alu instid0(VALU_DEP_1)
	v_dual_mov_b32 v5, v16 :: v_dual_mov_b32 v4, v15
	v_mov_b32_e32 v14, v17
.LBB0_17:                               ;   in Loop: Header=BB0_3 Depth=1
	s_or_b32 exec_lo, exec_lo, s5
	ds_bpermute_b32 v15, v11, v4
	s_wait_dscnt 0x1
	ds_bpermute_b32 v16, v11, v5
	s_mov_b32 s5, exec_lo
	s_wait_dscnt 0x1
	v_cmpx_ne_u32_e32 0, v15
	s_cbranch_execz .LBB0_21
; %bb.18:                               ;   in Loop: Header=BB0_3 Depth=1
	v_cmp_ne_u32_e64 s3, 0, v4
	s_wait_dscnt 0x0
	v_cmp_nlt_f32_e64 s4, v14, v16
	v_mov_b32_e32 v17, v16
	s_and_b32 s3, s3, s4
	s_delay_alu instid0(SALU_CYCLE_1)
	s_and_saveexec_b32 s4, s3
; %bb.19:                               ;   in Loop: Header=BB0_3 Depth=1
	v_dual_mov_b32 v17, v14 :: v_dual_min_i32 v15, v15, v4
	v_cmp_eq_f32_e64 s3, v14, v16
	s_delay_alu instid0(VALU_DEP_1)
	v_dual_mov_b32 v16, v5 :: v_dual_cndmask_b32 v15, v4, v15, s3
; %bb.20:                               ;   in Loop: Header=BB0_3 Depth=1
	s_or_b32 exec_lo, exec_lo, s4
	s_delay_alu instid0(VALU_DEP_1)
	v_dual_mov_b32 v5, v16 :: v_dual_mov_b32 v4, v15
	v_mov_b32_e32 v14, v17
.LBB0_21:                               ;   in Loop: Header=BB0_3 Depth=1
	s_or_b32 exec_lo, exec_lo, s5
	ds_bpermute_b32 v15, v12, v4
	s_wait_dscnt 0x1
	ds_bpermute_b32 v16, v12, v5
	s_mov_b32 s15, exec_lo
	s_wait_dscnt 0x1
	v_cmpx_ne_u32_e32 0, v15
	s_cbranch_execz .LBB0_23
; %bb.22:                               ;   in Loop: Header=BB0_3 Depth=1
	v_cmp_eq_u32_e64 s3, 0, v4
	s_wait_dscnt 0x0
	v_cmp_lt_f32_e64 s4, v14, v16
	v_cmp_eq_f32_e64 s5, v14, v16
	s_or_b32 s3, s3, s4
	v_min_i32_e32 v17, v15, v4
	s_delay_alu instid0(VALU_DEP_1) | instskip(NEXT) | instid1(VALU_DEP_1)
	v_dual_cndmask_b32 v5, v5, v16, s3 :: v_dual_cndmask_b32 v4, v4, v17, s5
	v_cndmask_b32_e64 v4, v4, v15, s3
.LBB0_23:                               ;   in Loop: Header=BB0_3 Depth=1
	s_or_b32 exec_lo, exec_lo, s15
	s_and_saveexec_b32 s3, s1
; %bb.24:                               ;   in Loop: Header=BB0_3 Depth=1
	ds_store_b64 v8, v[4:5]
; %bb.25:                               ;   in Loop: Header=BB0_3 Depth=1
	s_or_b32 exec_lo, exec_lo, s3
	v_dual_mov_b32 v4, 0 :: v_dual_mov_b32 v5, 0
	s_wait_dscnt 0x0
	s_barrier_signal -1
	s_barrier_wait -1
	s_and_saveexec_b32 s3, vcc_lo
	s_cbranch_execnz .LBB0_28
; %bb.26:                               ;   in Loop: Header=BB0_3 Depth=1
	s_or_b32 exec_lo, exec_lo, s3
	s_and_saveexec_b32 s15, vcc_lo
	s_cbranch_execnz .LBB0_29
.LBB0_27:                               ;   in Loop: Header=BB0_3 Depth=1
	s_or_b32 exec_lo, exec_lo, s15
	s_and_saveexec_b32 s3, s0
	s_cbranch_execz .LBB0_2
	s_branch .LBB0_46
.LBB0_28:                               ;   in Loop: Header=BB0_3 Depth=1
	ds_load_b64 v[4:5], v6
	s_or_b32 exec_lo, exec_lo, s3
	s_and_saveexec_b32 s15, vcc_lo
	s_cbranch_execz .LBB0_27
.LBB0_29:                               ;   in Loop: Header=BB0_3 Depth=1
	s_wait_dscnt 0x0
	ds_bpermute_b32 v14, v7, v4
	ds_bpermute_b32 v15, v7, v5
	s_mov_b32 s16, exec_lo
	s_wait_dscnt 0x1
	v_cmpx_ne_u32_e32 0, v14
	s_cbranch_execz .LBB0_31
; %bb.30:                               ;   in Loop: Header=BB0_3 Depth=1
	v_cmp_eq_u32_e64 s3, 0, v4
	s_wait_dscnt 0x0
	v_cmp_lt_f32_e64 s4, v5, v15
	v_cmp_eq_f32_e64 s5, v5, v15
	s_or_b32 s3, s3, s4
	s_delay_alu instid0(SALU_CYCLE_1) | instskip(NEXT) | instid1(VALU_DEP_1)
	v_dual_cndmask_b32 v5, v5, v15, s3 :: v_dual_min_i32 v16, v14, v4
	v_cndmask_b32_e64 v4, v4, v16, s5
	s_delay_alu instid0(VALU_DEP_1)
	v_cndmask_b32_e64 v4, v4, v14, s3
.LBB0_31:                               ;   in Loop: Header=BB0_3 Depth=1
	s_or_b32 exec_lo, exec_lo, s16
	s_wait_dscnt 0x0
	ds_bpermute_b32 v15, v9, v4
	ds_bpermute_b32 v16, v9, v5
	v_mov_b32_e32 v14, v5
	s_mov_b32 s5, exec_lo
	s_wait_dscnt 0x1
	v_cmpx_ne_u32_e32 0, v15
	s_cbranch_execz .LBB0_35
; %bb.32:                               ;   in Loop: Header=BB0_3 Depth=1
	v_cmp_ne_u32_e64 s3, 0, v4
	s_wait_dscnt 0x0
	v_cmp_nlt_f32_e64 s4, v5, v16
	s_and_b32 s3, s3, s4
	s_delay_alu instid0(SALU_CYCLE_1)
	s_and_saveexec_b32 s4, s3
; %bb.33:                               ;   in Loop: Header=BB0_3 Depth=1
	v_min_i32_e32 v14, v15, v4
	v_cmp_eq_f32_e64 s3, v5, v16
	s_delay_alu instid0(VALU_DEP_1)
	v_dual_mov_b32 v16, v5 :: v_dual_cndmask_b32 v15, v4, v14, s3
; %bb.34:                               ;   in Loop: Header=BB0_3 Depth=1
	s_or_b32 exec_lo, exec_lo, s4
	s_delay_alu instid0(VALU_DEP_1)
	v_dual_mov_b32 v5, v16 :: v_dual_mov_b32 v4, v15
	v_mov_b32_e32 v14, v16
.LBB0_35:                               ;   in Loop: Header=BB0_3 Depth=1
	s_or_b32 exec_lo, exec_lo, s5
	ds_bpermute_b32 v15, v10, v4
	s_wait_dscnt 0x1
	ds_bpermute_b32 v16, v10, v5
	s_mov_b32 s5, exec_lo
	s_wait_dscnt 0x1
	v_cmpx_ne_u32_e32 0, v15
	s_cbranch_execz .LBB0_39
; %bb.36:                               ;   in Loop: Header=BB0_3 Depth=1
	v_cmp_ne_u32_e64 s3, 0, v4
	s_wait_dscnt 0x0
	v_cmp_nlt_f32_e64 s4, v14, v16
	v_mov_b32_e32 v17, v16
	s_and_b32 s3, s3, s4
	s_delay_alu instid0(SALU_CYCLE_1)
	s_and_saveexec_b32 s4, s3
; %bb.37:                               ;   in Loop: Header=BB0_3 Depth=1
	v_dual_mov_b32 v17, v14 :: v_dual_min_i32 v15, v15, v4
	v_cmp_eq_f32_e64 s3, v14, v16
	s_delay_alu instid0(VALU_DEP_1)
	v_dual_mov_b32 v16, v5 :: v_dual_cndmask_b32 v15, v4, v15, s3
; %bb.38:                               ;   in Loop: Header=BB0_3 Depth=1
	s_or_b32 exec_lo, exec_lo, s4
	s_delay_alu instid0(VALU_DEP_1)
	v_dual_mov_b32 v5, v16 :: v_dual_mov_b32 v4, v15
	v_mov_b32_e32 v14, v17
.LBB0_39:                               ;   in Loop: Header=BB0_3 Depth=1
	s_or_b32 exec_lo, exec_lo, s5
	ds_bpermute_b32 v15, v11, v4
	s_wait_dscnt 0x1
	ds_bpermute_b32 v16, v11, v5
	s_mov_b32 s5, exec_lo
	s_wait_dscnt 0x1
	v_cmpx_ne_u32_e32 0, v15
	s_cbranch_execz .LBB0_43
; %bb.40:                               ;   in Loop: Header=BB0_3 Depth=1
	v_cmp_ne_u32_e64 s3, 0, v4
	s_wait_dscnt 0x0
	v_cmp_nlt_f32_e64 s4, v14, v16
	v_mov_b32_e32 v17, v16
	s_and_b32 s3, s3, s4
	s_delay_alu instid0(SALU_CYCLE_1)
	s_and_saveexec_b32 s4, s3
; %bb.41:                               ;   in Loop: Header=BB0_3 Depth=1
	v_dual_mov_b32 v17, v14 :: v_dual_min_i32 v15, v15, v4
	v_cmp_eq_f32_e64 s3, v14, v16
	s_delay_alu instid0(VALU_DEP_1)
	v_dual_mov_b32 v16, v5 :: v_dual_cndmask_b32 v15, v4, v15, s3
; %bb.42:                               ;   in Loop: Header=BB0_3 Depth=1
	s_or_b32 exec_lo, exec_lo, s4
	s_delay_alu instid0(VALU_DEP_1)
	v_dual_mov_b32 v5, v16 :: v_dual_mov_b32 v4, v15
	v_mov_b32_e32 v14, v17
.LBB0_43:                               ;   in Loop: Header=BB0_3 Depth=1
	s_or_b32 exec_lo, exec_lo, s5
	ds_bpermute_b32 v15, v12, v4
	s_wait_dscnt 0x1
	ds_bpermute_b32 v16, v12, v5
	s_mov_b32 s16, exec_lo
	s_wait_dscnt 0x1
	v_cmpx_ne_u32_e32 0, v15
	s_cbranch_execz .LBB0_45
; %bb.44:                               ;   in Loop: Header=BB0_3 Depth=1
	v_cmp_eq_u32_e64 s3, 0, v4
	s_wait_dscnt 0x0
	v_cmp_lt_f32_e64 s4, v14, v16
	v_cmp_eq_f32_e64 s5, v14, v16
	s_or_b32 s3, s3, s4
	v_min_i32_e32 v17, v15, v4
	s_delay_alu instid0(VALU_DEP_1) | instskip(NEXT) | instid1(VALU_DEP_1)
	v_dual_cndmask_b32 v5, v5, v16, s3 :: v_dual_cndmask_b32 v4, v4, v17, s5
	v_cndmask_b32_e64 v4, v4, v15, s3
.LBB0_45:                               ;   in Loop: Header=BB0_3 Depth=1
	s_or_b32 exec_lo, exec_lo, s16
	s_delay_alu instid0(SALU_CYCLE_1)
	s_or_b32 exec_lo, exec_lo, s15
	s_and_saveexec_b32 s3, s0
	s_cbranch_execz .LBB0_2
.LBB0_46:                               ;   in Loop: Header=BB0_3 Depth=1
	v_mov_b32_e32 v14, s6
	s_wait_dscnt 0x0
	global_store_b64 v14, v[4:5], s[12:13] scale_offset
	s_branch .LBB0_2
.LBB0_47:
	s_endpgm
	.section	.rodata,"a",@progbits
	.p2align	6, 0x0
	.amdhsa_kernel _ZL32rocblas_iamax_iamin_kernel_part1ILi1024E23rocblas_fetch_amax_aminIfE19rocblas_reduce_amaxPKf21rocblas_index_value_tIfEEviiT2_liliPT3_
		.amdhsa_group_segment_fixed_size 256
		.amdhsa_private_segment_fixed_size 0
		.amdhsa_kernarg_size 56
		.amdhsa_user_sgpr_count 2
		.amdhsa_user_sgpr_dispatch_ptr 0
		.amdhsa_user_sgpr_queue_ptr 0
		.amdhsa_user_sgpr_kernarg_segment_ptr 1
		.amdhsa_user_sgpr_dispatch_id 0
		.amdhsa_user_sgpr_kernarg_preload_length 0
		.amdhsa_user_sgpr_kernarg_preload_offset 0
		.amdhsa_user_sgpr_private_segment_size 0
		.amdhsa_wavefront_size32 1
		.amdhsa_uses_dynamic_stack 0
		.amdhsa_enable_private_segment 0
		.amdhsa_system_sgpr_workgroup_id_x 1
		.amdhsa_system_sgpr_workgroup_id_y 0
		.amdhsa_system_sgpr_workgroup_id_z 1
		.amdhsa_system_sgpr_workgroup_info 0
		.amdhsa_system_vgpr_workitem_id 0
		.amdhsa_next_free_vgpr 18
		.amdhsa_next_free_sgpr 18
		.amdhsa_named_barrier_count 0
		.amdhsa_reserve_vcc 1
		.amdhsa_float_round_mode_32 0
		.amdhsa_float_round_mode_16_64 0
		.amdhsa_float_denorm_mode_32 3
		.amdhsa_float_denorm_mode_16_64 3
		.amdhsa_fp16_overflow 0
		.amdhsa_memory_ordered 1
		.amdhsa_forward_progress 1
		.amdhsa_inst_pref_size 15
		.amdhsa_round_robin_scheduling 0
		.amdhsa_exception_fp_ieee_invalid_op 0
		.amdhsa_exception_fp_denorm_src 0
		.amdhsa_exception_fp_ieee_div_zero 0
		.amdhsa_exception_fp_ieee_overflow 0
		.amdhsa_exception_fp_ieee_underflow 0
		.amdhsa_exception_fp_ieee_inexact 0
		.amdhsa_exception_int_div_zero 0
	.end_amdhsa_kernel
	.section	.text._ZL32rocblas_iamax_iamin_kernel_part1ILi1024E23rocblas_fetch_amax_aminIfE19rocblas_reduce_amaxPKf21rocblas_index_value_tIfEEviiT2_liliPT3_,"axG",@progbits,_ZL32rocblas_iamax_iamin_kernel_part1ILi1024E23rocblas_fetch_amax_aminIfE19rocblas_reduce_amaxPKf21rocblas_index_value_tIfEEviiT2_liliPT3_,comdat
.Lfunc_end0:
	.size	_ZL32rocblas_iamax_iamin_kernel_part1ILi1024E23rocblas_fetch_amax_aminIfE19rocblas_reduce_amaxPKf21rocblas_index_value_tIfEEviiT2_liliPT3_, .Lfunc_end0-_ZL32rocblas_iamax_iamin_kernel_part1ILi1024E23rocblas_fetch_amax_aminIfE19rocblas_reduce_amaxPKf21rocblas_index_value_tIfEEviiT2_liliPT3_
                                        ; -- End function
	.set _ZL32rocblas_iamax_iamin_kernel_part1ILi1024E23rocblas_fetch_amax_aminIfE19rocblas_reduce_amaxPKf21rocblas_index_value_tIfEEviiT2_liliPT3_.num_vgpr, 18
	.set _ZL32rocblas_iamax_iamin_kernel_part1ILi1024E23rocblas_fetch_amax_aminIfE19rocblas_reduce_amaxPKf21rocblas_index_value_tIfEEviiT2_liliPT3_.num_agpr, 0
	.set _ZL32rocblas_iamax_iamin_kernel_part1ILi1024E23rocblas_fetch_amax_aminIfE19rocblas_reduce_amaxPKf21rocblas_index_value_tIfEEviiT2_liliPT3_.numbered_sgpr, 18
	.set _ZL32rocblas_iamax_iamin_kernel_part1ILi1024E23rocblas_fetch_amax_aminIfE19rocblas_reduce_amaxPKf21rocblas_index_value_tIfEEviiT2_liliPT3_.num_named_barrier, 0
	.set _ZL32rocblas_iamax_iamin_kernel_part1ILi1024E23rocblas_fetch_amax_aminIfE19rocblas_reduce_amaxPKf21rocblas_index_value_tIfEEviiT2_liliPT3_.private_seg_size, 0
	.set _ZL32rocblas_iamax_iamin_kernel_part1ILi1024E23rocblas_fetch_amax_aminIfE19rocblas_reduce_amaxPKf21rocblas_index_value_tIfEEviiT2_liliPT3_.uses_vcc, 1
	.set _ZL32rocblas_iamax_iamin_kernel_part1ILi1024E23rocblas_fetch_amax_aminIfE19rocblas_reduce_amaxPKf21rocblas_index_value_tIfEEviiT2_liliPT3_.uses_flat_scratch, 0
	.set _ZL32rocblas_iamax_iamin_kernel_part1ILi1024E23rocblas_fetch_amax_aminIfE19rocblas_reduce_amaxPKf21rocblas_index_value_tIfEEviiT2_liliPT3_.has_dyn_sized_stack, 0
	.set _ZL32rocblas_iamax_iamin_kernel_part1ILi1024E23rocblas_fetch_amax_aminIfE19rocblas_reduce_amaxPKf21rocblas_index_value_tIfEEviiT2_liliPT3_.has_recursion, 0
	.set _ZL32rocblas_iamax_iamin_kernel_part1ILi1024E23rocblas_fetch_amax_aminIfE19rocblas_reduce_amaxPKf21rocblas_index_value_tIfEEviiT2_liliPT3_.has_indirect_call, 0
	.section	.AMDGPU.csdata,"",@progbits
; Kernel info:
; codeLenInByte = 1840
; TotalNumSgprs: 20
; NumVgprs: 18
; ScratchSize: 0
; MemoryBound: 0
; FloatMode: 240
; IeeeMode: 1
; LDSByteSize: 256 bytes/workgroup (compile time only)
; SGPRBlocks: 0
; VGPRBlocks: 1
; NumSGPRsForWavesPerEU: 20
; NumVGPRsForWavesPerEU: 18
; NamedBarCnt: 0
; Occupancy: 16
; WaveLimiterHint : 0
; COMPUTE_PGM_RSRC2:SCRATCH_EN: 0
; COMPUTE_PGM_RSRC2:USER_SGPR: 2
; COMPUTE_PGM_RSRC2:TRAP_HANDLER: 0
; COMPUTE_PGM_RSRC2:TGID_X_EN: 1
; COMPUTE_PGM_RSRC2:TGID_Y_EN: 0
; COMPUTE_PGM_RSRC2:TGID_Z_EN: 1
; COMPUTE_PGM_RSRC2:TIDIG_COMP_CNT: 0
	.section	.text._ZL32rocblas_iamax_iamin_kernel_part2ILi1024E19rocblas_reduce_amax21rocblas_index_value_tIfEiEviPT1_PT2_,"axG",@progbits,_ZL32rocblas_iamax_iamin_kernel_part2ILi1024E19rocblas_reduce_amax21rocblas_index_value_tIfEiEviPT1_PT2_,comdat
	.globl	_ZL32rocblas_iamax_iamin_kernel_part2ILi1024E19rocblas_reduce_amax21rocblas_index_value_tIfEiEviPT1_PT2_ ; -- Begin function _ZL32rocblas_iamax_iamin_kernel_part2ILi1024E19rocblas_reduce_amax21rocblas_index_value_tIfEiEviPT1_PT2_
	.p2align	8
	.type	_ZL32rocblas_iamax_iamin_kernel_part2ILi1024E19rocblas_reduce_amax21rocblas_index_value_tIfEiEviPT1_PT2_,@function
_ZL32rocblas_iamax_iamin_kernel_part2ILi1024E19rocblas_reduce_amax21rocblas_index_value_tIfEiEviPT1_PT2_: ; @_ZL32rocblas_iamax_iamin_kernel_part2ILi1024E19rocblas_reduce_amax21rocblas_index_value_tIfEiEviPT1_PT2_
; %bb.0:
	s_clause 0x1
	s_load_b32 s10, s[0:1], 0x0
	s_load_b128 s[4:7], s[0:1], 0x8
	v_mov_b32_e32 v2, 0
	s_getreg_b32 s8, hwreg(HW_REG_IB_STS2, 6, 4)
	s_mov_b32 s9, exec_lo
	s_wait_kmcnt 0x0
	v_cmpx_gt_i32_e64 s10, v0
	s_cbranch_execz .LBB1_10
; %bb.1:
	s_bfe_u32 s0, ttmp6, 0x4000c
	s_and_b32 s1, ttmp6, 15
	s_add_co_i32 s0, s0, 1
	v_or_b32_e32 v1, 0x400, v0
	s_mul_i32 s0, ttmp9, s0
	s_delay_alu instid0(SALU_CYCLE_1) | instskip(SKIP_4) | instid1(SALU_CYCLE_1)
	s_add_co_i32 s1, s1, s0
	s_cmp_eq_u32 s8, 0
	s_cselect_b32 s0, ttmp9, s1
	s_mov_b32 s1, 0
	s_mul_i32 s0, s10, s0
	s_lshl_b64 s[2:3], s[0:1], 3
	s_delay_alu instid0(SALU_CYCLE_1)
	s_add_nc_u64 s[2:3], s[4:5], s[2:3]
	s_mov_b32 s4, exec_lo
	global_load_b64 v[2:3], v0, s[2:3] scale_offset
	s_wait_xcnt 0x0
	v_cmpx_gt_u32_e64 s10, v1
	s_cbranch_execz .LBB1_9
; %bb.2:
	v_dual_mov_b32 v5, 0 :: v_dual_lshlrev_b32 v4, 3, v0
	s_delay_alu instid0(VALU_DEP_1) | instskip(NEXT) | instid1(VALU_DEP_1)
	v_add_nc_u64_e32 v[4:5], s[2:3], v[4:5]
	v_add_nc_u64_e32 v[4:5], 0x2000, v[4:5]
	s_branch .LBB1_5
.LBB1_3:                                ;   in Loop: Header=BB1_5 Depth=1
	s_or_b32 exec_lo, exec_lo, s0
	s_delay_alu instid0(VALU_DEP_1)
	v_dual_mov_b32 v2, v6 :: v_dual_mov_b32 v3, v7
.LBB1_4:                                ;   in Loop: Header=BB1_5 Depth=1
	s_or_b32 exec_lo, exec_lo, s2
	v_add_nc_u32_e32 v1, 0x400, v1
	v_add_nc_u64_e32 v[4:5], 0x2000, v[4:5]
	s_delay_alu instid0(VALU_DEP_2) | instskip(SKIP_1) | instid1(SALU_CYCLE_1)
	v_cmp_le_i32_e32 vcc_lo, s10, v1
	s_or_b32 s1, vcc_lo, s1
	s_and_not1_b32 exec_lo, exec_lo, s1
	s_cbranch_execz .LBB1_8
.LBB1_5:                                ; =>This Inner Loop Header: Depth=1
	global_load_b32 v6, v[4:5], off
	s_mov_b32 s2, exec_lo
	s_wait_loadcnt 0x0
	v_cmpx_ne_u32_e32 0, v6
	s_cbranch_execz .LBB1_4
; %bb.6:                                ;   in Loop: Header=BB1_5 Depth=1
	global_load_b32 v7, v[4:5], off offset:4
	v_cmp_ne_u32_e32 vcc_lo, 0, v2
	s_wait_loadcnt 0x0
	v_cmp_ngt_f32_e64 s0, v7, v3
	s_and_b32 s3, vcc_lo, s0
	s_delay_alu instid0(SALU_CYCLE_1)
	s_and_saveexec_b32 s0, s3
	s_cbranch_execz .LBB1_3
; %bb.7:                                ;   in Loop: Header=BB1_5 Depth=1
	v_min_i32_e32 v6, v6, v2
	v_cmp_eq_f32_e32 vcc_lo, v3, v7
	s_delay_alu instid0(VALU_DEP_2)
	v_dual_mov_b32 v7, v3 :: v_dual_cndmask_b32 v6, v2, v6
	s_branch .LBB1_3
.LBB1_8:
	s_or_b32 exec_lo, exec_lo, s1
.LBB1_9:
	s_delay_alu instid0(SALU_CYCLE_1)
	s_or_b32 exec_lo, exec_lo, s4
.LBB1_10:
	s_delay_alu instid0(SALU_CYCLE_1) | instskip(SKIP_2) | instid1(VALU_DEP_2)
	s_or_b32 exec_lo, exec_lo, s9
	v_and_b32_e32 v9, 31, v0
	v_cmp_gt_u32_e32 vcc_lo, 32, v0
	v_lshlrev_b32_e32 v4, 3, v9
	s_and_saveexec_b32 s0, vcc_lo
; %bb.11:
	v_mov_b64_e32 v[6:7], 0
	ds_store_b64 v4, v[6:7]
; %bb.12:
	s_or_b32 exec_lo, exec_lo, s0
	v_mbcnt_lo_u32_b32 v8, -1, 0
	s_wait_loadcnt 0x0
	v_mov_b32_e32 v10, v3
	s_mov_b32 s3, exec_lo
	s_wait_dscnt 0x0
	s_barrier_signal -1
	v_lshl_or_b32 v1, v8, 2, 64
	s_barrier_wait -1
	ds_bpermute_b32 v5, v1, v2
	ds_bpermute_b32 v6, v1, v3
	s_wait_dscnt 0x1
	v_cmpx_ne_u32_e32 0, v5
	s_cbranch_execz .LBB1_14
; %bb.13:
	v_cmp_eq_u32_e64 s0, 0, v2
	s_wait_dscnt 0x0
	v_cmp_lt_f32_e64 s1, v3, v6
	v_cmp_eq_f32_e64 s2, v3, v6
	s_or_b32 s0, s0, s1
	v_min_i32_e32 v7, v5, v2
	s_delay_alu instid0(VALU_DEP_1) | instskip(NEXT) | instid1(VALU_DEP_1)
	v_dual_cndmask_b32 v3, v3, v6, s0 :: v_dual_cndmask_b32 v2, v2, v7, s2
	v_dual_mov_b32 v10, v3 :: v_dual_cndmask_b32 v2, v2, v5, s0
.LBB1_14:
	s_or_b32 exec_lo, exec_lo, s3
	v_cmp_gt_u32_e64 s0, 24, v8
	s_mov_b32 s2, exec_lo
	v_cndmask_b32_e64 v5, 0, 8, s0
	s_delay_alu instid0(VALU_DEP_1)
	v_add_lshl_u32 v5, v5, v8, 2
	s_wait_dscnt 0x0
	ds_bpermute_b32 v6, v5, v2
	ds_bpermute_b32 v7, v5, v3
	s_wait_dscnt 0x1
	v_cmpx_ne_u32_e32 0, v6
	s_cbranch_execz .LBB1_18
; %bb.15:
	v_cmp_ne_u32_e64 s0, 0, v2
	s_wait_dscnt 0x0
	v_cmp_nlt_f32_e64 s1, v10, v7
	v_mov_b32_e32 v11, v7
	s_and_b32 s0, s0, s1
	s_delay_alu instid0(SALU_CYCLE_1)
	s_and_saveexec_b32 s1, s0
; %bb.16:
	v_min_i32_e32 v6, v6, v2
	v_cmp_eq_f32_e64 s0, v10, v7
	v_dual_mov_b32 v11, v10 :: v_dual_mov_b32 v7, v3
	s_delay_alu instid0(VALU_DEP_2)
	v_cndmask_b32_e64 v6, v2, v6, s0
; %bb.17:
	s_or_b32 exec_lo, exec_lo, s1
	s_delay_alu instid0(VALU_DEP_1) | instskip(NEXT) | instid1(VALU_DEP_3)
	v_dual_mov_b32 v3, v7 :: v_dual_mov_b32 v2, v6
	v_mov_b32_e32 v10, v11
.LBB1_18:
	s_or_b32 exec_lo, exec_lo, s2
	v_cmp_gt_u32_e64 s0, 28, v8
	s_mov_b32 s2, exec_lo
	v_cndmask_b32_e64 v6, 0, 4, s0
	s_delay_alu instid0(VALU_DEP_1)
	v_add_lshl_u32 v6, v6, v8, 2
	s_wait_dscnt 0x0
	ds_bpermute_b32 v7, v6, v2
	ds_bpermute_b32 v11, v6, v3
	s_wait_dscnt 0x1
	v_cmpx_ne_u32_e32 0, v7
	s_cbranch_execz .LBB1_22
; %bb.19:
	v_cmp_ne_u32_e64 s0, 0, v2
	s_wait_dscnt 0x0
	v_cmp_nlt_f32_e64 s1, v10, v11
	v_mov_b32_e32 v12, v11
	s_and_b32 s0, s0, s1
	s_delay_alu instid0(SALU_CYCLE_1)
	s_and_saveexec_b32 s1, s0
; %bb.20:
	v_dual_mov_b32 v12, v10 :: v_dual_min_i32 v7, v7, v2
	v_cmp_eq_f32_e64 s0, v10, v11
	s_delay_alu instid0(VALU_DEP_1)
	v_dual_mov_b32 v11, v3 :: v_dual_cndmask_b32 v7, v2, v7, s0
; %bb.21:
	s_or_b32 exec_lo, exec_lo, s1
	s_delay_alu instid0(VALU_DEP_1)
	v_dual_mov_b32 v3, v11 :: v_dual_mov_b32 v2, v7
	v_mov_b32_e32 v10, v12
.LBB1_22:
	s_or_b32 exec_lo, exec_lo, s2
	v_cmp_gt_u32_e64 s0, 30, v8
	s_mov_b32 s2, exec_lo
	v_cndmask_b32_e64 v7, 0, 2, s0
	s_delay_alu instid0(VALU_DEP_1)
	v_add_lshl_u32 v7, v7, v8, 2
	s_wait_dscnt 0x0
	ds_bpermute_b32 v11, v7, v2
	ds_bpermute_b32 v12, v7, v3
	s_wait_dscnt 0x1
	v_cmpx_ne_u32_e32 0, v11
	s_cbranch_execz .LBB1_26
; %bb.23:
	v_cmp_ne_u32_e64 s0, 0, v2
	s_wait_dscnt 0x0
	v_cmp_nlt_f32_e64 s1, v10, v12
	v_mov_b32_e32 v13, v12
	s_and_b32 s0, s0, s1
	s_delay_alu instid0(SALU_CYCLE_1)
	s_and_saveexec_b32 s1, s0
; %bb.24:
	v_dual_mov_b32 v13, v10 :: v_dual_min_i32 v11, v11, v2
	v_cmp_eq_f32_e64 s0, v10, v12
	s_delay_alu instid0(VALU_DEP_1)
	v_dual_mov_b32 v12, v3 :: v_dual_cndmask_b32 v11, v2, v11, s0
; %bb.25:
	s_or_b32 exec_lo, exec_lo, s1
	s_delay_alu instid0(VALU_DEP_1)
	v_dual_mov_b32 v3, v12 :: v_dual_mov_b32 v2, v11
	v_mov_b32_e32 v10, v13
.LBB1_26:
	s_or_b32 exec_lo, exec_lo, s2
	v_cmp_ne_u32_e64 s0, 31, v8
	s_mov_b32 s3, exec_lo
	v_add_co_ci_u32_e64 v8, null, 0, v8, s0
	s_delay_alu instid0(VALU_DEP_1)
	v_lshlrev_b32_e32 v8, 2, v8
	ds_bpermute_b32 v11, v8, v2
	s_wait_dscnt 0x1
	ds_bpermute_b32 v12, v8, v3
	s_wait_dscnt 0x1
	v_cmpx_ne_u32_e32 0, v11
	s_cbranch_execz .LBB1_28
; %bb.27:
	v_cmp_eq_u32_e64 s0, 0, v2
	s_wait_dscnt 0x0
	v_cmp_lt_f32_e64 s1, v10, v12
	v_cmp_eq_f32_e64 s2, v10, v12
	s_or_b32 s0, s0, s1
	v_min_i32_e32 v13, v11, v2
	s_delay_alu instid0(VALU_DEP_1) | instskip(NEXT) | instid1(VALU_DEP_1)
	v_dual_cndmask_b32 v3, v3, v12, s0 :: v_dual_cndmask_b32 v2, v2, v13, s2
	v_cndmask_b32_e64 v2, v2, v11, s0
.LBB1_28:
	s_or_b32 exec_lo, exec_lo, s3
	s_delay_alu instid0(SALU_CYCLE_1)
	s_mov_b32 s1, exec_lo
	v_cmpx_eq_u32_e32 0, v9
; %bb.29:
	v_lshrrev_b32_e32 v9, 2, v0
	s_delay_alu instid0(VALU_DEP_1)
	v_and_b32_e32 v9, 0xf8, v9
	ds_store_b64 v9, v[2:3]
; %bb.30:
	s_or_b32 exec_lo, exec_lo, s1
	v_dual_mov_b32 v2, 0 :: v_dual_mov_b32 v3, 0
	s_wait_dscnt 0x0
	s_barrier_signal -1
	s_barrier_wait -1
	s_and_saveexec_b32 s0, vcc_lo
; %bb.31:
	ds_load_b64 v[2:3], v4
; %bb.32:
	s_or_b32 exec_lo, exec_lo, s0
	s_and_saveexec_b32 s2, vcc_lo
	s_cbranch_execz .LBB1_50
; %bb.33:
	s_wait_dscnt 0x0
	ds_bpermute_b32 v4, v1, v2
	ds_bpermute_b32 v1, v1, v3
	s_mov_b32 s3, exec_lo
	s_wait_dscnt 0x1
	v_cmpx_ne_u32_e32 0, v4
	s_cbranch_execz .LBB1_35
; %bb.34:
	v_cmp_eq_u32_e32 vcc_lo, 0, v2
	s_wait_dscnt 0x0
	v_cmp_lt_f32_e64 s0, v3, v1
	v_cmp_eq_f32_e64 s1, v3, v1
	s_or_b32 vcc_lo, vcc_lo, s0
	s_delay_alu instid0(SALU_CYCLE_1) | instskip(NEXT) | instid1(VALU_DEP_1)
	v_dual_cndmask_b32 v3, v3, v1, vcc_lo :: v_dual_min_i32 v9, v4, v2
	v_cndmask_b32_e64 v2, v2, v9, s1
	s_delay_alu instid0(VALU_DEP_1)
	v_cndmask_b32_e32 v2, v2, v4, vcc_lo
.LBB1_35:
	s_or_b32 exec_lo, exec_lo, s3
	ds_bpermute_b32 v4, v5, v2
	ds_bpermute_b32 v5, v5, v3
	s_wait_dscnt 0x2
	v_mov_b32_e32 v1, v3
	s_mov_b32 s1, exec_lo
	s_wait_dscnt 0x1
	v_cmpx_ne_u32_e32 0, v4
	s_cbranch_execz .LBB1_39
; %bb.36:
	v_cmp_ne_u32_e32 vcc_lo, 0, v2
	s_wait_dscnt 0x0
	v_cmp_nlt_f32_e64 s0, v3, v5
	s_and_b32 s3, vcc_lo, s0
	s_delay_alu instid0(SALU_CYCLE_1)
	s_and_saveexec_b32 s0, s3
; %bb.37:
	v_min_i32_e32 v1, v4, v2
	v_cmp_eq_f32_e32 vcc_lo, v3, v5
	s_delay_alu instid0(VALU_DEP_2)
	v_dual_mov_b32 v5, v3 :: v_dual_cndmask_b32 v4, v2, v1
; %bb.38:
	s_or_b32 exec_lo, exec_lo, s0
	s_delay_alu instid0(VALU_DEP_1)
	v_dual_mov_b32 v3, v5 :: v_dual_mov_b32 v2, v4
	v_mov_b32_e32 v1, v5
.LBB1_39:
	s_or_b32 exec_lo, exec_lo, s1
	ds_bpermute_b32 v4, v6, v2
	s_wait_dscnt 0x1
	ds_bpermute_b32 v5, v6, v3
	s_mov_b32 s1, exec_lo
	s_wait_dscnt 0x1
	v_cmpx_ne_u32_e32 0, v4
	s_cbranch_execz .LBB1_43
; %bb.40:
	v_cmp_ne_u32_e32 vcc_lo, 0, v2
	s_wait_dscnt 0x0
	v_cmp_nlt_f32_e64 s0, v1, v5
	v_mov_b32_e32 v6, v5
	s_and_b32 s3, vcc_lo, s0
	s_delay_alu instid0(SALU_CYCLE_1)
	s_and_saveexec_b32 s0, s3
; %bb.41:
	v_dual_mov_b32 v6, v1 :: v_dual_min_i32 v4, v4, v2
	v_cmp_eq_f32_e32 vcc_lo, v1, v5
	s_delay_alu instid0(VALU_DEP_2)
	v_dual_mov_b32 v5, v3 :: v_dual_cndmask_b32 v4, v2, v4
; %bb.42:
	s_or_b32 exec_lo, exec_lo, s0
	s_delay_alu instid0(VALU_DEP_1)
	v_dual_mov_b32 v3, v5 :: v_dual_mov_b32 v2, v4
	v_mov_b32_e32 v1, v6
.LBB1_43:
	s_or_b32 exec_lo, exec_lo, s1
	ds_bpermute_b32 v4, v7, v2
	s_wait_dscnt 0x1
	ds_bpermute_b32 v5, v7, v3
	s_mov_b32 s1, exec_lo
	s_wait_dscnt 0x1
	v_cmpx_ne_u32_e32 0, v4
	s_cbranch_execz .LBB1_47
; %bb.44:
	v_cmp_ne_u32_e32 vcc_lo, 0, v2
	s_wait_dscnt 0x0
	v_cmp_nlt_f32_e64 s0, v1, v5
	v_mov_b32_e32 v6, v5
	s_and_b32 s3, vcc_lo, s0
	s_delay_alu instid0(SALU_CYCLE_1)
	s_and_saveexec_b32 s0, s3
; %bb.45:
	v_dual_mov_b32 v6, v1 :: v_dual_min_i32 v4, v4, v2
	v_cmp_eq_f32_e32 vcc_lo, v1, v5
	s_delay_alu instid0(VALU_DEP_2)
	v_dual_mov_b32 v5, v3 :: v_dual_cndmask_b32 v4, v2, v4
; %bb.46:
	s_or_b32 exec_lo, exec_lo, s0
	s_delay_alu instid0(VALU_DEP_1)
	v_dual_mov_b32 v3, v5 :: v_dual_mov_b32 v2, v4
	v_mov_b32_e32 v1, v6
.LBB1_47:
	s_or_b32 exec_lo, exec_lo, s1
	ds_bpermute_b32 v4, v8, v2
	ds_bpermute_b32 v3, v8, v3
	s_mov_b32 s3, exec_lo
	s_wait_dscnt 0x1
	v_cmpx_ne_u32_e32 0, v4
	s_cbranch_execz .LBB1_49
; %bb.48:
	v_cmp_eq_u32_e32 vcc_lo, 0, v2
	s_wait_dscnt 0x0
	v_cmp_lt_f32_e64 s0, v1, v3
	v_cmp_eq_f32_e64 s1, v1, v3
	s_or_b32 vcc_lo, vcc_lo, s0
	v_min_i32_e32 v5, v4, v2
	s_delay_alu instid0(VALU_DEP_1) | instskip(NEXT) | instid1(VALU_DEP_1)
	v_cndmask_b32_e64 v1, v2, v5, s1
	v_cndmask_b32_e32 v2, v1, v4, vcc_lo
.LBB1_49:
	s_or_b32 exec_lo, exec_lo, s3
.LBB1_50:
	s_delay_alu instid0(SALU_CYCLE_1) | instskip(NEXT) | instid1(SALU_CYCLE_1)
	s_or_b32 exec_lo, exec_lo, s2
	s_mov_b32 s0, exec_lo
	v_cmpx_eq_u32_e32 0, v0
	s_cbranch_execz .LBB1_52
; %bb.51:
	s_bfe_u32 s0, ttmp6, 0x4000c
	s_and_b32 s1, ttmp6, 15
	s_add_co_i32 s0, s0, 1
	s_delay_alu instid0(SALU_CYCLE_1) | instskip(NEXT) | instid1(SALU_CYCLE_1)
	s_mul_i32 s0, ttmp9, s0
	s_add_co_i32 s1, s1, s0
	s_cmp_eq_u32 s8, 0
	s_cselect_b32 s0, ttmp9, s1
	s_delay_alu instid0(SALU_CYCLE_1)
	v_mov_b32_e32 v0, s0
	s_wait_dscnt 0x0
	global_store_b32 v0, v2, s[6:7] scale_offset
.LBB1_52:
	s_endpgm
	.section	.rodata,"a",@progbits
	.p2align	6, 0x0
	.amdhsa_kernel _ZL32rocblas_iamax_iamin_kernel_part2ILi1024E19rocblas_reduce_amax21rocblas_index_value_tIfEiEviPT1_PT2_
		.amdhsa_group_segment_fixed_size 256
		.amdhsa_private_segment_fixed_size 0
		.amdhsa_kernarg_size 24
		.amdhsa_user_sgpr_count 2
		.amdhsa_user_sgpr_dispatch_ptr 0
		.amdhsa_user_sgpr_queue_ptr 0
		.amdhsa_user_sgpr_kernarg_segment_ptr 1
		.amdhsa_user_sgpr_dispatch_id 0
		.amdhsa_user_sgpr_kernarg_preload_length 0
		.amdhsa_user_sgpr_kernarg_preload_offset 0
		.amdhsa_user_sgpr_private_segment_size 0
		.amdhsa_wavefront_size32 1
		.amdhsa_uses_dynamic_stack 0
		.amdhsa_enable_private_segment 0
		.amdhsa_system_sgpr_workgroup_id_x 1
		.amdhsa_system_sgpr_workgroup_id_y 0
		.amdhsa_system_sgpr_workgroup_id_z 0
		.amdhsa_system_sgpr_workgroup_info 0
		.amdhsa_system_vgpr_workitem_id 0
		.amdhsa_next_free_vgpr 14
		.amdhsa_next_free_sgpr 11
		.amdhsa_named_barrier_count 0
		.amdhsa_reserve_vcc 1
		.amdhsa_float_round_mode_32 0
		.amdhsa_float_round_mode_16_64 0
		.amdhsa_float_denorm_mode_32 3
		.amdhsa_float_denorm_mode_16_64 3
		.amdhsa_fp16_overflow 0
		.amdhsa_memory_ordered 1
		.amdhsa_forward_progress 1
		.amdhsa_inst_pref_size 15
		.amdhsa_round_robin_scheduling 0
		.amdhsa_exception_fp_ieee_invalid_op 0
		.amdhsa_exception_fp_denorm_src 0
		.amdhsa_exception_fp_ieee_div_zero 0
		.amdhsa_exception_fp_ieee_overflow 0
		.amdhsa_exception_fp_ieee_underflow 0
		.amdhsa_exception_fp_ieee_inexact 0
		.amdhsa_exception_int_div_zero 0
	.end_amdhsa_kernel
	.section	.text._ZL32rocblas_iamax_iamin_kernel_part2ILi1024E19rocblas_reduce_amax21rocblas_index_value_tIfEiEviPT1_PT2_,"axG",@progbits,_ZL32rocblas_iamax_iamin_kernel_part2ILi1024E19rocblas_reduce_amax21rocblas_index_value_tIfEiEviPT1_PT2_,comdat
.Lfunc_end1:
	.size	_ZL32rocblas_iamax_iamin_kernel_part2ILi1024E19rocblas_reduce_amax21rocblas_index_value_tIfEiEviPT1_PT2_, .Lfunc_end1-_ZL32rocblas_iamax_iamin_kernel_part2ILi1024E19rocblas_reduce_amax21rocblas_index_value_tIfEiEviPT1_PT2_
                                        ; -- End function
	.set _ZL32rocblas_iamax_iamin_kernel_part2ILi1024E19rocblas_reduce_amax21rocblas_index_value_tIfEiEviPT1_PT2_.num_vgpr, 14
	.set _ZL32rocblas_iamax_iamin_kernel_part2ILi1024E19rocblas_reduce_amax21rocblas_index_value_tIfEiEviPT1_PT2_.num_agpr, 0
	.set _ZL32rocblas_iamax_iamin_kernel_part2ILi1024E19rocblas_reduce_amax21rocblas_index_value_tIfEiEviPT1_PT2_.numbered_sgpr, 11
	.set _ZL32rocblas_iamax_iamin_kernel_part2ILi1024E19rocblas_reduce_amax21rocblas_index_value_tIfEiEviPT1_PT2_.num_named_barrier, 0
	.set _ZL32rocblas_iamax_iamin_kernel_part2ILi1024E19rocblas_reduce_amax21rocblas_index_value_tIfEiEviPT1_PT2_.private_seg_size, 0
	.set _ZL32rocblas_iamax_iamin_kernel_part2ILi1024E19rocblas_reduce_amax21rocblas_index_value_tIfEiEviPT1_PT2_.uses_vcc, 1
	.set _ZL32rocblas_iamax_iamin_kernel_part2ILi1024E19rocblas_reduce_amax21rocblas_index_value_tIfEiEviPT1_PT2_.uses_flat_scratch, 0
	.set _ZL32rocblas_iamax_iamin_kernel_part2ILi1024E19rocblas_reduce_amax21rocblas_index_value_tIfEiEviPT1_PT2_.has_dyn_sized_stack, 0
	.set _ZL32rocblas_iamax_iamin_kernel_part2ILi1024E19rocblas_reduce_amax21rocblas_index_value_tIfEiEviPT1_PT2_.has_recursion, 0
	.set _ZL32rocblas_iamax_iamin_kernel_part2ILi1024E19rocblas_reduce_amax21rocblas_index_value_tIfEiEviPT1_PT2_.has_indirect_call, 0
	.section	.AMDGPU.csdata,"",@progbits
; Kernel info:
; codeLenInByte = 1816
; TotalNumSgprs: 13
; NumVgprs: 14
; ScratchSize: 0
; MemoryBound: 0
; FloatMode: 240
; IeeeMode: 1
; LDSByteSize: 256 bytes/workgroup (compile time only)
; SGPRBlocks: 0
; VGPRBlocks: 0
; NumSGPRsForWavesPerEU: 13
; NumVGPRsForWavesPerEU: 14
; NamedBarCnt: 0
; Occupancy: 16
; WaveLimiterHint : 0
; COMPUTE_PGM_RSRC2:SCRATCH_EN: 0
; COMPUTE_PGM_RSRC2:USER_SGPR: 2
; COMPUTE_PGM_RSRC2:TRAP_HANDLER: 0
; COMPUTE_PGM_RSRC2:TGID_X_EN: 1
; COMPUTE_PGM_RSRC2:TGID_Y_EN: 0
; COMPUTE_PGM_RSRC2:TGID_Z_EN: 0
; COMPUTE_PGM_RSRC2:TIDIG_COMP_CNT: 0
	.section	.text._ZL32rocblas_iamax_iamin_kernel_part1ILi1024E23rocblas_fetch_amax_aminIdE19rocblas_reduce_amaxPKd21rocblas_index_value_tIdEEviiT2_liliPT3_,"axG",@progbits,_ZL32rocblas_iamax_iamin_kernel_part1ILi1024E23rocblas_fetch_amax_aminIdE19rocblas_reduce_amaxPKd21rocblas_index_value_tIdEEviiT2_liliPT3_,comdat
	.globl	_ZL32rocblas_iamax_iamin_kernel_part1ILi1024E23rocblas_fetch_amax_aminIdE19rocblas_reduce_amaxPKd21rocblas_index_value_tIdEEviiT2_liliPT3_ ; -- Begin function _ZL32rocblas_iamax_iamin_kernel_part1ILi1024E23rocblas_fetch_amax_aminIdE19rocblas_reduce_amaxPKd21rocblas_index_value_tIdEEviiT2_liliPT3_
	.p2align	8
	.type	_ZL32rocblas_iamax_iamin_kernel_part1ILi1024E23rocblas_fetch_amax_aminIdE19rocblas_reduce_amaxPKd21rocblas_index_value_tIdEEviiT2_liliPT3_,@function
_ZL32rocblas_iamax_iamin_kernel_part1ILi1024E23rocblas_fetch_amax_aminIdE19rocblas_reduce_amaxPKd21rocblas_index_value_tIdEEviiT2_liliPT3_: ; @_ZL32rocblas_iamax_iamin_kernel_part1ILi1024E23rocblas_fetch_amax_aminIdE19rocblas_reduce_amaxPKd21rocblas_index_value_tIdEEviiT2_liliPT3_
; %bb.0:
	s_load_b32 s14, s[0:1], 0x28
	s_bfe_u32 s2, ttmp6, 0x40014
	s_lshr_b32 s3, ttmp7, 16
	s_add_co_i32 s2, s2, 1
	s_bfe_u32 s5, ttmp6, 0x40008
	s_mul_i32 s4, s3, s2
	s_getreg_b32 s2, hwreg(HW_REG_IB_STS2, 6, 4)
	s_add_co_i32 s5, s5, s4
	s_cmp_eq_u32 s2, 0
	s_mov_b32 s9, 0
	s_cselect_b32 s8, s3, s5
	s_wait_kmcnt 0x0
	s_cmp_ge_u32 s8, s14
	s_cbranch_scc1 .LBB2_51
; %bb.1:
	s_clause 0x1
	s_load_b32 s16, s[0:1], 0x18
	s_load_b128 s[4:7], s[0:1], 0x8
	s_bfe_u32 s3, ttmp6, 0x4000c
	s_and_b32 s15, ttmp6, 15
	s_add_co_i32 s3, s3, 1
	v_dual_mov_b32 v3, 0 :: v_dual_bitop2_b32 v6, 31, v0 bitop3:0x40
	s_mul_i32 s3, ttmp9, s3
	v_mbcnt_lo_u32_b32 v7, -1, 0
	s_add_co_i32 s15, s15, s3
	s_clause 0x1
	s_load_b64 s[10:11], s[0:1], 0x20
	s_load_b64 s[12:13], s[0:1], 0x30
	v_dual_lshrrev_b32 v8, 1, v0 :: v_dual_lshlrev_b32 v14, 4, v6
	v_cmp_gt_u32_e32 vcc_lo, 32, v0
	v_lshl_or_b32 v15, v7, 2, 64
	s_delay_alu instid0(VALU_DEP_3)
	v_and_b32_e32 v16, 0x1f0, v8
	s_wait_kmcnt 0x0
	s_ashr_i32 s17, s16, 31
	s_lshl_b64 s[6:7], s[6:7], 3
	s_cmp_eq_u32 s2, 0
	s_load_b64 s[2:3], s[0:1], 0x0
	s_cselect_b32 s15, ttmp9, s15
	s_wait_xcnt 0x0
	v_cmp_gt_u32_e64 s1, 24, v7
	v_lshl_or_b32 v2, s15, 10, v0
	v_cmp_eq_u32_e64 s0, 0, v0
	v_mov_b64_e32 v[0:1], 0
	s_add_nc_u64 s[4:5], s[4:5], s[6:7]
	v_cndmask_b32_e64 v9, 0, 8, s1
	v_mul_u64_e32 v[4:5], s[16:17], v[2:3]
	v_cmp_gt_u32_e64 s1, 28, v7
	s_delay_alu instid0(VALU_DEP_3) | instskip(NEXT) | instid1(VALU_DEP_2)
	v_add_lshl_u32 v17, v9, v7, 2
	v_cndmask_b32_e64 v10, 0, 4, s1
	v_cmp_gt_u32_e64 s1, 30, v7
	s_delay_alu instid0(VALU_DEP_2) | instskip(NEXT) | instid1(VALU_DEP_2)
	v_add_lshl_u32 v18, v10, v7, 2
	v_cndmask_b32_e64 v11, 0, 2, s1
	v_cmp_ne_u32_e64 s1, 31, v7
	s_wait_kmcnt 0x0
	s_mov_b32 s16, s2
	s_ashr_i32 s17, s2, 31
	s_delay_alu instid0(SALU_CYCLE_1) | instskip(SKIP_3) | instid1(VALU_DEP_3)
	v_cmp_gt_i64_e64 s2, s[16:17], v[2:3]
	v_add_co_ci_u32_e64 v12, null, 0, v7, s1
	v_cmp_eq_u32_e64 s1, 0, v6
	v_add_lshl_u32 v19, v11, v7, 2
	v_dual_add_nc_u32 v2, 1, v2 :: v_dual_lshlrev_b32 v20, 2, v12
	v_lshl_add_u64 v[4:5], v[4:5], 3, s[4:5]
	s_mul_i32 s4, s8, s3
	s_delay_alu instid0(SALU_CYCLE_1)
	s_add_co_i32 s6, s15, s4
	s_lshl_b32 s15, s3, 16
	s_branch .LBB2_3
.LBB2_2:                                ;   in Loop: Header=BB2_3 Depth=1
	s_wait_xcnt 0x0
	s_or_b32 exec_lo, exec_lo, s3
	s_add_co_i32 s8, s8, 0x10000
	s_add_co_i32 s6, s6, s15
	s_cmp_lt_u32 s8, s14
	s_cbranch_scc0 .LBB2_51
.LBB2_3:                                ; =>This Inner Loop Header: Depth=1
	s_wait_dscnt 0x1
	v_mov_b32_e32 v21, 0
                                        ; implicit-def: $vgpr6_vgpr7
	s_and_saveexec_b32 s4, s2
	s_cbranch_execz .LBB2_5
; %bb.4:                                ;   in Loop: Header=BB2_3 Depth=1
	s_mul_u64 s[16:17], s[10:11], s[8:9]
	v_mov_b32_e32 v21, v2
	s_wait_dscnt 0x0
	v_lshl_add_u64 v[6:7], s[16:17], 3, v[4:5]
	global_load_b64 v[6:7], v[6:7], off
	s_wait_loadcnt 0x0
	v_cmp_gt_f64_e64 s3, 0, v[6:7]
	v_xor_b32_e32 v8, 0x80000000, v7
	s_wait_xcnt 0x0
	s_delay_alu instid0(VALU_DEP_1)
	v_cndmask_b32_e64 v7, v7, v8, s3
.LBB2_5:                                ;   in Loop: Header=BB2_3 Depth=1
	s_or_b32 exec_lo, exec_lo, s4
	s_and_saveexec_b32 s3, vcc_lo
	s_cbranch_execz .LBB2_7
; %bb.6:                                ;   in Loop: Header=BB2_3 Depth=1
	ds_store_b32 v14, v3
	ds_store_b64 v14, v[0:1] offset:8
.LBB2_7:                                ;   in Loop: Header=BB2_3 Depth=1
	s_or_b32 exec_lo, exec_lo, s3
	ds_bpermute_b32 v12, v15, v21
	s_wait_dscnt 0x1
	ds_bpermute_b32 v10, v15, v6
	ds_bpermute_b32 v11, v15, v7
	v_mov_b64_e32 v[8:9], v[6:7]
	s_mov_b32 s5, exec_lo
	s_wait_dscnt 0x0
	s_barrier_signal -1
	s_barrier_wait -1
	v_cmpx_ne_u32_e32 0, v12
	s_cbranch_execz .LBB2_11
; %bb.8:                                ;   in Loop: Header=BB2_3 Depth=1
	v_cmp_nlt_f64_e64 s3, v[6:7], v[10:11]
	v_cmp_ne_u32_e64 s4, 0, v21
	v_mov_b64_e32 v[8:9], v[10:11]
	s_and_b32 s3, s4, s3
	s_delay_alu instid0(SALU_CYCLE_1)
	s_and_saveexec_b32 s4, s3
	s_cbranch_execz .LBB2_10
; %bb.9:                                ;   in Loop: Header=BB2_3 Depth=1
	v_cmp_eq_f64_e64 s3, v[6:7], v[10:11]
	v_dual_mov_b32 v10, v6 :: v_dual_min_i32 v12, v12, v21
	v_mov_b64_e32 v[8:9], v[6:7]
	s_delay_alu instid0(VALU_DEP_2)
	v_dual_mov_b32 v11, v7 :: v_dual_cndmask_b32 v12, v21, v12, s3
.LBB2_10:                               ;   in Loop: Header=BB2_3 Depth=1
	s_or_b32 exec_lo, exec_lo, s4
	s_delay_alu instid0(VALU_DEP_1) | instskip(NEXT) | instid1(VALU_DEP_2)
	v_dual_mov_b32 v7, v11 :: v_dual_mov_b32 v6, v10
	v_mov_b32_e32 v21, v12
.LBB2_11:                               ;   in Loop: Header=BB2_3 Depth=1
	s_or_b32 exec_lo, exec_lo, s5
	ds_bpermute_b32 v22, v17, v21
	ds_bpermute_b32 v10, v17, v6
	;; [unrolled: 1-line block ×3, first 2 shown]
	s_mov_b32 s5, exec_lo
	s_wait_dscnt 0x2
	v_cmpx_ne_u32_e32 0, v22
	s_cbranch_execz .LBB2_15
; %bb.12:                               ;   in Loop: Header=BB2_3 Depth=1
	s_wait_dscnt 0x0
	v_cmp_nlt_f64_e64 s3, v[8:9], v[10:11]
	v_cmp_ne_u32_e64 s4, 0, v21
	v_mov_b64_e32 v[12:13], v[10:11]
	s_and_b32 s3, s4, s3
	s_delay_alu instid0(SALU_CYCLE_1)
	s_and_saveexec_b32 s4, s3
	s_cbranch_execz .LBB2_14
; %bb.13:                               ;   in Loop: Header=BB2_3 Depth=1
	v_cmp_eq_f64_e64 s3, v[8:9], v[10:11]
	v_dual_mov_b32 v11, v7 :: v_dual_min_i32 v22, v22, v21
	v_mov_b64_e32 v[12:13], v[8:9]
	s_delay_alu instid0(VALU_DEP_2)
	v_dual_mov_b32 v10, v6 :: v_dual_cndmask_b32 v22, v21, v22, s3
.LBB2_14:                               ;   in Loop: Header=BB2_3 Depth=1
	s_or_b32 exec_lo, exec_lo, s4
	s_delay_alu instid0(VALU_DEP_1) | instskip(NEXT) | instid1(VALU_DEP_2)
	v_mov_b64_e32 v[8:9], v[12:13]
	v_dual_mov_b32 v7, v11 :: v_dual_mov_b32 v6, v10
	s_delay_alu instid0(VALU_DEP_3)
	v_mov_b32_e32 v21, v22
.LBB2_15:                               ;   in Loop: Header=BB2_3 Depth=1
	s_or_b32 exec_lo, exec_lo, s5
	ds_bpermute_b32 v22, v18, v21
	s_wait_dscnt 0x2
	ds_bpermute_b32 v10, v18, v6
	s_wait_dscnt 0x2
	ds_bpermute_b32 v11, v18, v7
	s_mov_b32 s5, exec_lo
	s_wait_dscnt 0x2
	v_cmpx_ne_u32_e32 0, v22
	s_cbranch_execz .LBB2_19
; %bb.16:                               ;   in Loop: Header=BB2_3 Depth=1
	s_wait_dscnt 0x0
	v_cmp_nlt_f64_e64 s3, v[8:9], v[10:11]
	v_cmp_ne_u32_e64 s4, 0, v21
	v_mov_b64_e32 v[12:13], v[10:11]
	s_and_b32 s3, s4, s3
	s_delay_alu instid0(SALU_CYCLE_1)
	s_and_saveexec_b32 s4, s3
	s_cbranch_execz .LBB2_18
; %bb.17:                               ;   in Loop: Header=BB2_3 Depth=1
	v_cmp_eq_f64_e64 s3, v[8:9], v[10:11]
	v_dual_mov_b32 v11, v7 :: v_dual_min_i32 v22, v22, v21
	v_mov_b64_e32 v[12:13], v[8:9]
	s_delay_alu instid0(VALU_DEP_2)
	v_dual_mov_b32 v10, v6 :: v_dual_cndmask_b32 v22, v21, v22, s3
.LBB2_18:                               ;   in Loop: Header=BB2_3 Depth=1
	s_or_b32 exec_lo, exec_lo, s4
	s_delay_alu instid0(VALU_DEP_1) | instskip(NEXT) | instid1(VALU_DEP_2)
	v_mov_b64_e32 v[8:9], v[12:13]
	v_dual_mov_b32 v7, v11 :: v_dual_mov_b32 v6, v10
	s_delay_alu instid0(VALU_DEP_3)
	v_mov_b32_e32 v21, v22
.LBB2_19:                               ;   in Loop: Header=BB2_3 Depth=1
	s_or_b32 exec_lo, exec_lo, s5
	ds_bpermute_b32 v22, v19, v21
	s_wait_dscnt 0x2
	ds_bpermute_b32 v10, v19, v6
	s_wait_dscnt 0x2
	ds_bpermute_b32 v11, v19, v7
	s_mov_b32 s5, exec_lo
	s_wait_dscnt 0x2
	v_cmpx_ne_u32_e32 0, v22
	s_cbranch_execz .LBB2_23
; %bb.20:                               ;   in Loop: Header=BB2_3 Depth=1
	s_wait_dscnt 0x0
	v_cmp_nlt_f64_e64 s3, v[8:9], v[10:11]
	v_cmp_ne_u32_e64 s4, 0, v21
	v_mov_b64_e32 v[12:13], v[10:11]
	s_and_b32 s3, s4, s3
	s_delay_alu instid0(SALU_CYCLE_1)
	s_and_saveexec_b32 s4, s3
	s_cbranch_execz .LBB2_22
; %bb.21:                               ;   in Loop: Header=BB2_3 Depth=1
	v_cmp_eq_f64_e64 s3, v[8:9], v[10:11]
	v_dual_mov_b32 v11, v7 :: v_dual_min_i32 v22, v22, v21
	v_mov_b64_e32 v[12:13], v[8:9]
	s_delay_alu instid0(VALU_DEP_2)
	v_dual_mov_b32 v10, v6 :: v_dual_cndmask_b32 v22, v21, v22, s3
.LBB2_22:                               ;   in Loop: Header=BB2_3 Depth=1
	s_or_b32 exec_lo, exec_lo, s4
	s_delay_alu instid0(VALU_DEP_1) | instskip(NEXT) | instid1(VALU_DEP_2)
	v_mov_b64_e32 v[8:9], v[12:13]
	v_dual_mov_b32 v7, v11 :: v_dual_mov_b32 v6, v10
	s_delay_alu instid0(VALU_DEP_3)
	v_mov_b32_e32 v21, v22
.LBB2_23:                               ;   in Loop: Header=BB2_3 Depth=1
	s_or_b32 exec_lo, exec_lo, s5
	s_wait_dscnt 0x1
	ds_bpermute_b32 v10, v20, v21
	ds_bpermute_b32 v6, v20, v6
	;; [unrolled: 1-line block ×3, first 2 shown]
	s_mov_b32 s7, exec_lo
	s_wait_dscnt 0x2
	v_cmpx_ne_u32_e32 0, v10
	s_cbranch_execz .LBB2_25
; %bb.24:                               ;   in Loop: Header=BB2_3 Depth=1
	s_wait_dscnt 0x0
	v_cmp_lt_f64_e64 s3, v[8:9], v[6:7]
	v_cmp_eq_f64_e64 s5, v[8:9], v[6:7]
	v_cmp_eq_u32_e64 s4, 0, v21
	s_or_b32 s3, s4, s3
	s_delay_alu instid0(SALU_CYCLE_1) | instskip(NEXT) | instid1(VALU_DEP_1)
	v_dual_cndmask_b32 v9, v9, v7, s3 :: v_dual_min_i32 v11, v10, v21
	v_dual_cndmask_b32 v8, v8, v6, s3 :: v_dual_cndmask_b32 v11, v21, v11, s5
	s_delay_alu instid0(VALU_DEP_1)
	v_cndmask_b32_e64 v21, v11, v10, s3
.LBB2_25:                               ;   in Loop: Header=BB2_3 Depth=1
	s_or_b32 exec_lo, exec_lo, s7
	s_and_saveexec_b32 s3, s1
	s_cbranch_execz .LBB2_27
; %bb.26:                               ;   in Loop: Header=BB2_3 Depth=1
	ds_store_b32 v16, v21
	ds_store_b64 v16, v[8:9] offset:8
.LBB2_27:                               ;   in Loop: Header=BB2_3 Depth=1
	s_or_b32 exec_lo, exec_lo, s3
	s_wait_dscnt 0x0
	v_mov_b64_e32 v[6:7], 0
	v_mov_b32_e32 v21, 0
	s_barrier_signal -1
	s_barrier_wait -1
	s_and_saveexec_b32 s3, vcc_lo
	s_cbranch_execnz .LBB2_30
; %bb.28:                               ;   in Loop: Header=BB2_3 Depth=1
	s_or_b32 exec_lo, exec_lo, s3
	s_and_saveexec_b32 s7, vcc_lo
	s_cbranch_execnz .LBB2_31
.LBB2_29:                               ;   in Loop: Header=BB2_3 Depth=1
	s_or_b32 exec_lo, exec_lo, s7
	s_and_saveexec_b32 s3, s0
	s_cbranch_execz .LBB2_2
	s_branch .LBB2_50
.LBB2_30:                               ;   in Loop: Header=BB2_3 Depth=1
	ds_load_b32 v21, v14
	ds_load_b64 v[6:7], v14 offset:8
	s_or_b32 exec_lo, exec_lo, s3
	s_and_saveexec_b32 s7, vcc_lo
	s_cbranch_execz .LBB2_29
.LBB2_31:                               ;   in Loop: Header=BB2_3 Depth=1
	s_wait_dscnt 0x1
	ds_bpermute_b32 v12, v15, v21
	s_wait_dscnt 0x1
	ds_bpermute_b32 v10, v15, v6
	ds_bpermute_b32 v11, v15, v7
	v_mov_b64_e32 v[8:9], v[6:7]
	s_mov_b32 s5, exec_lo
	s_wait_dscnt 0x2
	v_cmpx_ne_u32_e32 0, v12
	s_cbranch_execz .LBB2_35
; %bb.32:                               ;   in Loop: Header=BB2_3 Depth=1
	s_wait_dscnt 0x0
	v_cmp_nlt_f64_e64 s3, v[6:7], v[10:11]
	v_cmp_ne_u32_e64 s4, 0, v21
	v_mov_b64_e32 v[8:9], v[10:11]
	s_and_b32 s3, s4, s3
	s_delay_alu instid0(SALU_CYCLE_1)
	s_and_saveexec_b32 s4, s3
	s_cbranch_execz .LBB2_34
; %bb.33:                               ;   in Loop: Header=BB2_3 Depth=1
	v_cmp_eq_f64_e64 s3, v[6:7], v[10:11]
	v_dual_mov_b32 v10, v6 :: v_dual_min_i32 v12, v12, v21
	v_mov_b64_e32 v[8:9], v[6:7]
	s_delay_alu instid0(VALU_DEP_2)
	v_dual_mov_b32 v11, v7 :: v_dual_cndmask_b32 v12, v21, v12, s3
.LBB2_34:                               ;   in Loop: Header=BB2_3 Depth=1
	s_or_b32 exec_lo, exec_lo, s4
	s_delay_alu instid0(VALU_DEP_1) | instskip(NEXT) | instid1(VALU_DEP_2)
	v_dual_mov_b32 v7, v11 :: v_dual_mov_b32 v6, v10
	v_mov_b32_e32 v21, v12
.LBB2_35:                               ;   in Loop: Header=BB2_3 Depth=1
	s_or_b32 exec_lo, exec_lo, s5
	ds_bpermute_b32 v22, v17, v21
	s_wait_dscnt 0x2
	ds_bpermute_b32 v10, v17, v6
	s_wait_dscnt 0x2
	ds_bpermute_b32 v11, v17, v7
	s_mov_b32 s5, exec_lo
	s_wait_dscnt 0x2
	v_cmpx_ne_u32_e32 0, v22
	s_cbranch_execz .LBB2_39
; %bb.36:                               ;   in Loop: Header=BB2_3 Depth=1
	s_wait_dscnt 0x0
	v_cmp_nlt_f64_e64 s3, v[8:9], v[10:11]
	v_cmp_ne_u32_e64 s4, 0, v21
	v_mov_b64_e32 v[12:13], v[10:11]
	s_and_b32 s3, s4, s3
	s_delay_alu instid0(SALU_CYCLE_1)
	s_and_saveexec_b32 s4, s3
	s_cbranch_execz .LBB2_38
; %bb.37:                               ;   in Loop: Header=BB2_3 Depth=1
	v_cmp_eq_f64_e64 s3, v[8:9], v[10:11]
	v_dual_mov_b32 v11, v7 :: v_dual_min_i32 v22, v22, v21
	v_mov_b64_e32 v[12:13], v[8:9]
	s_delay_alu instid0(VALU_DEP_2)
	v_dual_mov_b32 v10, v6 :: v_dual_cndmask_b32 v22, v21, v22, s3
.LBB2_38:                               ;   in Loop: Header=BB2_3 Depth=1
	s_or_b32 exec_lo, exec_lo, s4
	s_delay_alu instid0(VALU_DEP_1) | instskip(NEXT) | instid1(VALU_DEP_2)
	v_mov_b64_e32 v[8:9], v[12:13]
	v_dual_mov_b32 v7, v11 :: v_dual_mov_b32 v6, v10
	s_delay_alu instid0(VALU_DEP_3)
	v_mov_b32_e32 v21, v22
.LBB2_39:                               ;   in Loop: Header=BB2_3 Depth=1
	s_or_b32 exec_lo, exec_lo, s5
	ds_bpermute_b32 v22, v18, v21
	s_wait_dscnt 0x2
	ds_bpermute_b32 v10, v18, v6
	s_wait_dscnt 0x2
	ds_bpermute_b32 v11, v18, v7
	s_mov_b32 s5, exec_lo
	s_wait_dscnt 0x2
	v_cmpx_ne_u32_e32 0, v22
	s_cbranch_execz .LBB2_43
; %bb.40:                               ;   in Loop: Header=BB2_3 Depth=1
	s_wait_dscnt 0x0
	v_cmp_nlt_f64_e64 s3, v[8:9], v[10:11]
	v_cmp_ne_u32_e64 s4, 0, v21
	v_mov_b64_e32 v[12:13], v[10:11]
	s_and_b32 s3, s4, s3
	s_delay_alu instid0(SALU_CYCLE_1)
	s_and_saveexec_b32 s4, s3
	s_cbranch_execz .LBB2_42
; %bb.41:                               ;   in Loop: Header=BB2_3 Depth=1
	v_cmp_eq_f64_e64 s3, v[8:9], v[10:11]
	v_dual_mov_b32 v11, v7 :: v_dual_min_i32 v22, v22, v21
	v_mov_b64_e32 v[12:13], v[8:9]
	s_delay_alu instid0(VALU_DEP_2)
	v_dual_mov_b32 v10, v6 :: v_dual_cndmask_b32 v22, v21, v22, s3
.LBB2_42:                               ;   in Loop: Header=BB2_3 Depth=1
	s_or_b32 exec_lo, exec_lo, s4
	s_delay_alu instid0(VALU_DEP_1) | instskip(NEXT) | instid1(VALU_DEP_2)
	v_mov_b64_e32 v[8:9], v[12:13]
	v_dual_mov_b32 v7, v11 :: v_dual_mov_b32 v6, v10
	s_delay_alu instid0(VALU_DEP_3)
	v_mov_b32_e32 v21, v22
.LBB2_43:                               ;   in Loop: Header=BB2_3 Depth=1
	;; [unrolled: 33-line block ×3, first 2 shown]
	s_or_b32 exec_lo, exec_lo, s5
	s_wait_dscnt 0x1
	ds_bpermute_b32 v10, v20, v21
	ds_bpermute_b32 v6, v20, v6
	;; [unrolled: 1-line block ×3, first 2 shown]
	s_mov_b32 s16, exec_lo
	s_wait_dscnt 0x2
	v_cmpx_ne_u32_e32 0, v10
	s_cbranch_execz .LBB2_49
; %bb.48:                               ;   in Loop: Header=BB2_3 Depth=1
	s_wait_dscnt 0x0
	v_cmp_lt_f64_e64 s3, v[8:9], v[6:7]
	v_cmp_eq_f64_e64 s5, v[8:9], v[6:7]
	v_cmp_eq_u32_e64 s4, 0, v21
	s_or_b32 s3, s4, s3
	s_delay_alu instid0(SALU_CYCLE_1) | instskip(NEXT) | instid1(VALU_DEP_1)
	v_dual_cndmask_b32 v9, v9, v7, s3 :: v_dual_min_i32 v11, v10, v21
	v_dual_cndmask_b32 v8, v8, v6, s3 :: v_dual_cndmask_b32 v11, v21, v11, s5
	s_delay_alu instid0(VALU_DEP_1)
	v_cndmask_b32_e64 v21, v11, v10, s3
.LBB2_49:                               ;   in Loop: Header=BB2_3 Depth=1
	s_or_b32 exec_lo, exec_lo, s16
	s_wait_dscnt 0x0
	s_delay_alu instid0(VALU_DEP_2)
	v_mov_b64_e32 v[6:7], v[8:9]
	s_or_b32 exec_lo, exec_lo, s7
	s_and_saveexec_b32 s3, s0
	s_cbranch_execz .LBB2_2
.LBB2_50:                               ;   in Loop: Header=BB2_3 Depth=1
	s_mov_b32 s7, s9
	s_delay_alu instid0(SALU_CYCLE_1) | instskip(NEXT) | instid1(SALU_CYCLE_1)
	s_lshl_b64 s[4:5], s[6:7], 4
	s_add_nc_u64 s[4:5], s[12:13], s[4:5]
	s_wait_dscnt 0x1
	global_store_b32 v3, v21, s[4:5]
	s_wait_dscnt 0x0
	global_store_b64 v3, v[6:7], s[4:5] offset:8
	s_branch .LBB2_2
.LBB2_51:
	s_endpgm
	.section	.rodata,"a",@progbits
	.p2align	6, 0x0
	.amdhsa_kernel _ZL32rocblas_iamax_iamin_kernel_part1ILi1024E23rocblas_fetch_amax_aminIdE19rocblas_reduce_amaxPKd21rocblas_index_value_tIdEEviiT2_liliPT3_
		.amdhsa_group_segment_fixed_size 512
		.amdhsa_private_segment_fixed_size 0
		.amdhsa_kernarg_size 56
		.amdhsa_user_sgpr_count 2
		.amdhsa_user_sgpr_dispatch_ptr 0
		.amdhsa_user_sgpr_queue_ptr 0
		.amdhsa_user_sgpr_kernarg_segment_ptr 1
		.amdhsa_user_sgpr_dispatch_id 0
		.amdhsa_user_sgpr_kernarg_preload_length 0
		.amdhsa_user_sgpr_kernarg_preload_offset 0
		.amdhsa_user_sgpr_private_segment_size 0
		.amdhsa_wavefront_size32 1
		.amdhsa_uses_dynamic_stack 0
		.amdhsa_enable_private_segment 0
		.amdhsa_system_sgpr_workgroup_id_x 1
		.amdhsa_system_sgpr_workgroup_id_y 0
		.amdhsa_system_sgpr_workgroup_id_z 1
		.amdhsa_system_sgpr_workgroup_info 0
		.amdhsa_system_vgpr_workitem_id 0
		.amdhsa_next_free_vgpr 23
		.amdhsa_next_free_sgpr 18
		.amdhsa_named_barrier_count 0
		.amdhsa_reserve_vcc 1
		.amdhsa_float_round_mode_32 0
		.amdhsa_float_round_mode_16_64 0
		.amdhsa_float_denorm_mode_32 3
		.amdhsa_float_denorm_mode_16_64 3
		.amdhsa_fp16_overflow 0
		.amdhsa_memory_ordered 1
		.amdhsa_forward_progress 1
		.amdhsa_inst_pref_size 18
		.amdhsa_round_robin_scheduling 0
		.amdhsa_exception_fp_ieee_invalid_op 0
		.amdhsa_exception_fp_denorm_src 0
		.amdhsa_exception_fp_ieee_div_zero 0
		.amdhsa_exception_fp_ieee_overflow 0
		.amdhsa_exception_fp_ieee_underflow 0
		.amdhsa_exception_fp_ieee_inexact 0
		.amdhsa_exception_int_div_zero 0
	.end_amdhsa_kernel
	.section	.text._ZL32rocblas_iamax_iamin_kernel_part1ILi1024E23rocblas_fetch_amax_aminIdE19rocblas_reduce_amaxPKd21rocblas_index_value_tIdEEviiT2_liliPT3_,"axG",@progbits,_ZL32rocblas_iamax_iamin_kernel_part1ILi1024E23rocblas_fetch_amax_aminIdE19rocblas_reduce_amaxPKd21rocblas_index_value_tIdEEviiT2_liliPT3_,comdat
.Lfunc_end2:
	.size	_ZL32rocblas_iamax_iamin_kernel_part1ILi1024E23rocblas_fetch_amax_aminIdE19rocblas_reduce_amaxPKd21rocblas_index_value_tIdEEviiT2_liliPT3_, .Lfunc_end2-_ZL32rocblas_iamax_iamin_kernel_part1ILi1024E23rocblas_fetch_amax_aminIdE19rocblas_reduce_amaxPKd21rocblas_index_value_tIdEEviiT2_liliPT3_
                                        ; -- End function
	.set _ZL32rocblas_iamax_iamin_kernel_part1ILi1024E23rocblas_fetch_amax_aminIdE19rocblas_reduce_amaxPKd21rocblas_index_value_tIdEEviiT2_liliPT3_.num_vgpr, 23
	.set _ZL32rocblas_iamax_iamin_kernel_part1ILi1024E23rocblas_fetch_amax_aminIdE19rocblas_reduce_amaxPKd21rocblas_index_value_tIdEEviiT2_liliPT3_.num_agpr, 0
	.set _ZL32rocblas_iamax_iamin_kernel_part1ILi1024E23rocblas_fetch_amax_aminIdE19rocblas_reduce_amaxPKd21rocblas_index_value_tIdEEviiT2_liliPT3_.numbered_sgpr, 18
	.set _ZL32rocblas_iamax_iamin_kernel_part1ILi1024E23rocblas_fetch_amax_aminIdE19rocblas_reduce_amaxPKd21rocblas_index_value_tIdEEviiT2_liliPT3_.num_named_barrier, 0
	.set _ZL32rocblas_iamax_iamin_kernel_part1ILi1024E23rocblas_fetch_amax_aminIdE19rocblas_reduce_amaxPKd21rocblas_index_value_tIdEEviiT2_liliPT3_.private_seg_size, 0
	.set _ZL32rocblas_iamax_iamin_kernel_part1ILi1024E23rocblas_fetch_amax_aminIdE19rocblas_reduce_amaxPKd21rocblas_index_value_tIdEEviiT2_liliPT3_.uses_vcc, 1
	.set _ZL32rocblas_iamax_iamin_kernel_part1ILi1024E23rocblas_fetch_amax_aminIdE19rocblas_reduce_amaxPKd21rocblas_index_value_tIdEEviiT2_liliPT3_.uses_flat_scratch, 0
	.set _ZL32rocblas_iamax_iamin_kernel_part1ILi1024E23rocblas_fetch_amax_aminIdE19rocblas_reduce_amaxPKd21rocblas_index_value_tIdEEviiT2_liliPT3_.has_dyn_sized_stack, 0
	.set _ZL32rocblas_iamax_iamin_kernel_part1ILi1024E23rocblas_fetch_amax_aminIdE19rocblas_reduce_amaxPKd21rocblas_index_value_tIdEEviiT2_liliPT3_.has_recursion, 0
	.set _ZL32rocblas_iamax_iamin_kernel_part1ILi1024E23rocblas_fetch_amax_aminIdE19rocblas_reduce_amaxPKd21rocblas_index_value_tIdEEviiT2_liliPT3_.has_indirect_call, 0
	.section	.AMDGPU.csdata,"",@progbits
; Kernel info:
; codeLenInByte = 2232
; TotalNumSgprs: 20
; NumVgprs: 23
; ScratchSize: 0
; MemoryBound: 0
; FloatMode: 240
; IeeeMode: 1
; LDSByteSize: 512 bytes/workgroup (compile time only)
; SGPRBlocks: 0
; VGPRBlocks: 1
; NumSGPRsForWavesPerEU: 20
; NumVGPRsForWavesPerEU: 23
; NamedBarCnt: 0
; Occupancy: 16
; WaveLimiterHint : 0
; COMPUTE_PGM_RSRC2:SCRATCH_EN: 0
; COMPUTE_PGM_RSRC2:USER_SGPR: 2
; COMPUTE_PGM_RSRC2:TRAP_HANDLER: 0
; COMPUTE_PGM_RSRC2:TGID_X_EN: 1
; COMPUTE_PGM_RSRC2:TGID_Y_EN: 0
; COMPUTE_PGM_RSRC2:TGID_Z_EN: 1
; COMPUTE_PGM_RSRC2:TIDIG_COMP_CNT: 0
	.section	.text._ZL32rocblas_iamax_iamin_kernel_part2ILi1024E19rocblas_reduce_amax21rocblas_index_value_tIdEiEviPT1_PT2_,"axG",@progbits,_ZL32rocblas_iamax_iamin_kernel_part2ILi1024E19rocblas_reduce_amax21rocblas_index_value_tIdEiEviPT1_PT2_,comdat
	.globl	_ZL32rocblas_iamax_iamin_kernel_part2ILi1024E19rocblas_reduce_amax21rocblas_index_value_tIdEiEviPT1_PT2_ ; -- Begin function _ZL32rocblas_iamax_iamin_kernel_part2ILi1024E19rocblas_reduce_amax21rocblas_index_value_tIdEiEviPT1_PT2_
	.p2align	8
	.type	_ZL32rocblas_iamax_iamin_kernel_part2ILi1024E19rocblas_reduce_amax21rocblas_index_value_tIdEiEviPT1_PT2_,@function
_ZL32rocblas_iamax_iamin_kernel_part2ILi1024E19rocblas_reduce_amax21rocblas_index_value_tIdEiEviPT1_PT2_: ; @_ZL32rocblas_iamax_iamin_kernel_part2ILi1024E19rocblas_reduce_amax21rocblas_index_value_tIdEiEviPT1_PT2_
; %bb.0:
	s_clause 0x1
	s_load_b32 s10, s[0:1], 0x0
	s_load_b128 s[4:7], s[0:1], 0x8
	v_mov_b32_e32 v1, 0
	s_getreg_b32 s8, hwreg(HW_REG_IB_STS2, 6, 4)
	s_mov_b32 s9, exec_lo
                                        ; implicit-def: $vgpr2_vgpr3
	s_wait_kmcnt 0x0
	v_cmpx_gt_i32_e64 s10, v0
	s_cbranch_execz .LBB3_10
; %bb.1:
	s_bfe_u32 s0, ttmp6, 0x4000c
	s_and_b32 s1, ttmp6, 15
	s_add_co_i32 s0, s0, 1
	v_lshlrev_b32_e32 v4, 4, v0
	s_mul_i32 s0, ttmp9, s0
	v_or_b32_e32 v8, 0x400, v0
	s_add_co_i32 s1, s1, s0
	s_cmp_eq_u32 s8, 0
	s_cselect_b32 s0, ttmp9, s1
	s_mov_b32 s1, 0
	s_mul_i32 s0, s10, s0
	s_delay_alu instid0(SALU_CYCLE_1) | instskip(NEXT) | instid1(SALU_CYCLE_1)
	s_lshl_b64 s[2:3], s[0:1], 4
	s_add_nc_u64 s[2:3], s[4:5], s[2:3]
	s_mov_b32 s4, exec_lo
	s_clause 0x1
	global_load_b32 v1, v4, s[2:3]
	global_load_b64 v[2:3], v4, s[2:3] offset:8
	s_wait_xcnt 0x0
	v_cmpx_gt_u32_e64 s10, v8
	s_cbranch_execz .LBB3_9
; %bb.2:
	v_mov_b32_e32 v5, 0
	s_delay_alu instid0(VALU_DEP_1) | instskip(NEXT) | instid1(VALU_DEP_1)
	v_add_nc_u64_e32 v[4:5], s[2:3], v[4:5]
	v_add_nc_u64_e32 v[4:5], 0x4000, v[4:5]
	s_branch .LBB3_5
.LBB3_3:                                ;   in Loop: Header=BB3_5 Depth=1
	s_or_b32 exec_lo, exec_lo, s0
	s_delay_alu instid0(VALU_DEP_2) | instskip(NEXT) | instid1(VALU_DEP_2)
	v_mov_b64_e32 v[2:3], v[6:7]
	v_mov_b32_e32 v1, v9
.LBB3_4:                                ;   in Loop: Header=BB3_5 Depth=1
	s_or_b32 exec_lo, exec_lo, s2
	v_add_nc_u32_e32 v8, 0x400, v8
	v_add_nc_u64_e32 v[4:5], 0x4000, v[4:5]
	s_delay_alu instid0(VALU_DEP_2) | instskip(SKIP_1) | instid1(SALU_CYCLE_1)
	v_cmp_le_i32_e32 vcc_lo, s10, v8
	s_or_b32 s1, vcc_lo, s1
	s_and_not1_b32 exec_lo, exec_lo, s1
	s_cbranch_execz .LBB3_8
.LBB3_5:                                ; =>This Inner Loop Header: Depth=1
	global_load_b32 v9, v[4:5], off
	s_mov_b32 s2, exec_lo
	s_wait_loadcnt 0x0
	v_cmpx_ne_u32_e32 0, v9
	s_cbranch_execz .LBB3_4
; %bb.6:                                ;   in Loop: Header=BB3_5 Depth=1
	global_load_b64 v[6:7], v[4:5], off offset:8
	v_cmp_ne_u32_e64 s0, 0, v1
	s_wait_loadcnt 0x0
	v_cmp_ngt_f64_e32 vcc_lo, v[6:7], v[2:3]
	s_and_b32 s3, s0, vcc_lo
	s_delay_alu instid0(SALU_CYCLE_1)
	s_and_saveexec_b32 s0, s3
	s_cbranch_execz .LBB3_3
; %bb.7:                                ;   in Loop: Header=BB3_5 Depth=1
	v_cmp_eq_f64_e32 vcc_lo, v[2:3], v[6:7]
	v_min_i32_e32 v9, v9, v1
	v_mov_b64_e32 v[6:7], v[2:3]
	s_delay_alu instid0(VALU_DEP_2)
	v_cndmask_b32_e32 v9, v1, v9, vcc_lo
	s_branch .LBB3_3
.LBB3_8:
	s_or_b32 exec_lo, exec_lo, s1
.LBB3_9:
	s_delay_alu instid0(SALU_CYCLE_1)
	s_or_b32 exec_lo, exec_lo, s4
.LBB3_10:
	s_delay_alu instid0(SALU_CYCLE_1) | instskip(SKIP_2) | instid1(VALU_DEP_2)
	s_or_b32 exec_lo, exec_lo, s9
	v_and_b32_e32 v16, 31, v0
	v_cmp_gt_u32_e32 vcc_lo, 32, v0
	v_lshlrev_b32_e32 v10, 4, v16
	s_and_saveexec_b32 s0, vcc_lo
	s_cbranch_execz .LBB3_12
; %bb.11:
	v_mov_b64_e32 v[4:5], 0
	v_mov_b32_e32 v6, 0
	ds_store_b32 v10, v6
	ds_store_b64 v10, v[4:5] offset:8
.LBB3_12:
	s_or_b32 exec_lo, exec_lo, s0
	v_mbcnt_lo_u32_b32 v15, -1, 0
	s_wait_loadcnt 0x0
	v_mov_b64_e32 v[4:5], v[2:3]
	s_mov_b32 s2, exec_lo
	s_wait_dscnt 0x0
	s_barrier_signal -1
	v_lshl_or_b32 v11, v15, 2, 64
	s_barrier_wait -1
	ds_bpermute_b32 v8, v11, v1
	ds_bpermute_b32 v6, v11, v2
	;; [unrolled: 1-line block ×3, first 2 shown]
	s_wait_dscnt 0x2
	v_cmpx_ne_u32_e32 0, v8
	s_cbranch_execz .LBB3_16
; %bb.13:
	s_wait_dscnt 0x0
	v_cmp_nlt_f64_e64 s0, v[2:3], v[6:7]
	v_cmp_ne_u32_e64 s1, 0, v1
	v_mov_b64_e32 v[4:5], v[6:7]
	s_and_b32 s0, s1, s0
	s_delay_alu instid0(SALU_CYCLE_1)
	s_and_saveexec_b32 s1, s0
	s_cbranch_execz .LBB3_15
; %bb.14:
	v_cmp_eq_f64_e64 s0, v[2:3], v[6:7]
	v_dual_mov_b32 v6, v2 :: v_dual_min_i32 v8, v8, v1
	v_mov_b64_e32 v[4:5], v[2:3]
	s_delay_alu instid0(VALU_DEP_2)
	v_dual_mov_b32 v7, v3 :: v_dual_cndmask_b32 v8, v1, v8, s0
.LBB3_15:
	s_or_b32 exec_lo, exec_lo, s1
	s_delay_alu instid0(VALU_DEP_1) | instskip(NEXT) | instid1(VALU_DEP_2)
	v_dual_mov_b32 v3, v7 :: v_dual_mov_b32 v2, v6
	v_mov_b32_e32 v1, v8
.LBB3_16:
	s_or_b32 exec_lo, exec_lo, s2
	v_cmp_gt_u32_e64 s0, 24, v15
	s_mov_b32 s2, exec_lo
	s_wait_dscnt 0x1
	v_cndmask_b32_e64 v6, 0, 8, s0
	s_delay_alu instid0(VALU_DEP_1)
	v_add_lshl_u32 v12, v6, v15, 2
	ds_bpermute_b32 v13, v12, v1
	ds_bpermute_b32 v6, v12, v2
	s_wait_dscnt 0x2
	ds_bpermute_b32 v7, v12, v3
	s_wait_dscnt 0x2
	v_cmpx_ne_u32_e32 0, v13
	s_cbranch_execz .LBB3_20
; %bb.17:
	s_wait_dscnt 0x0
	v_cmp_nlt_f64_e64 s0, v[4:5], v[6:7]
	v_cmp_ne_u32_e64 s1, 0, v1
	v_mov_b64_e32 v[8:9], v[6:7]
	s_and_b32 s0, s1, s0
	s_delay_alu instid0(SALU_CYCLE_1)
	s_and_saveexec_b32 s1, s0
	s_cbranch_execz .LBB3_19
; %bb.18:
	v_cmp_eq_f64_e64 s0, v[4:5], v[6:7]
	v_dual_mov_b32 v6, v2 :: v_dual_min_i32 v13, v13, v1
	v_mov_b64_e32 v[8:9], v[4:5]
	s_delay_alu instid0(VALU_DEP_2)
	v_dual_mov_b32 v7, v3 :: v_dual_cndmask_b32 v13, v1, v13, s0
.LBB3_19:
	s_or_b32 exec_lo, exec_lo, s1
	s_delay_alu instid0(VALU_DEP_1) | instskip(NEXT) | instid1(VALU_DEP_2)
	v_mov_b64_e32 v[4:5], v[8:9]
	v_dual_mov_b32 v3, v7 :: v_dual_mov_b32 v2, v6
	s_delay_alu instid0(VALU_DEP_3)
	v_mov_b32_e32 v1, v13
.LBB3_20:
	s_or_b32 exec_lo, exec_lo, s2
	v_cmp_gt_u32_e64 s0, 28, v15
	s_mov_b32 s2, exec_lo
	s_wait_dscnt 0x1
	v_cndmask_b32_e64 v6, 0, 4, s0
	s_delay_alu instid0(VALU_DEP_1)
	v_add_lshl_u32 v13, v6, v15, 2
	ds_bpermute_b32 v14, v13, v1
	ds_bpermute_b32 v6, v13, v2
	s_wait_dscnt 0x2
	ds_bpermute_b32 v7, v13, v3
	s_wait_dscnt 0x2
	v_cmpx_ne_u32_e32 0, v14
	s_cbranch_execz .LBB3_24
; %bb.21:
	s_wait_dscnt 0x0
	v_cmp_nlt_f64_e64 s0, v[4:5], v[6:7]
	v_cmp_ne_u32_e64 s1, 0, v1
	v_mov_b64_e32 v[8:9], v[6:7]
	s_and_b32 s0, s1, s0
	s_delay_alu instid0(SALU_CYCLE_1)
	s_and_saveexec_b32 s1, s0
	s_cbranch_execz .LBB3_23
; %bb.22:
	v_cmp_eq_f64_e64 s0, v[4:5], v[6:7]
	v_dual_mov_b32 v7, v3 :: v_dual_min_i32 v14, v14, v1
	v_mov_b64_e32 v[8:9], v[4:5]
	s_delay_alu instid0(VALU_DEP_2)
	v_dual_mov_b32 v6, v2 :: v_dual_cndmask_b32 v14, v1, v14, s0
.LBB3_23:
	s_or_b32 exec_lo, exec_lo, s1
	s_delay_alu instid0(VALU_DEP_1) | instskip(NEXT) | instid1(VALU_DEP_2)
	v_mov_b64_e32 v[4:5], v[8:9]
	v_dual_mov_b32 v3, v7 :: v_dual_mov_b32 v2, v6
	s_delay_alu instid0(VALU_DEP_3)
	v_mov_b32_e32 v1, v14
.LBB3_24:
	;; [unrolled: 37-line block ×3, first 2 shown]
	s_or_b32 exec_lo, exec_lo, s2
	v_cmp_ne_u32_e64 s0, 31, v15
	s_mov_b32 s3, exec_lo
	s_wait_dscnt 0x1
	v_add_co_ci_u32_e64 v6, null, 0, v15, s0
	s_delay_alu instid0(VALU_DEP_1)
	v_lshlrev_b32_e32 v15, 2, v6
	ds_bpermute_b32 v6, v15, v1
	ds_bpermute_b32 v2, v15, v2
	;; [unrolled: 1-line block ×3, first 2 shown]
	s_wait_dscnt 0x2
	v_cmpx_ne_u32_e32 0, v6
	s_cbranch_execz .LBB3_30
; %bb.29:
	s_wait_dscnt 0x0
	v_cmp_lt_f64_e64 s0, v[4:5], v[2:3]
	v_cmp_eq_f64_e64 s2, v[4:5], v[2:3]
	v_cmp_eq_u32_e64 s1, 0, v1
	s_or_b32 s0, s1, s0
	s_delay_alu instid0(SALU_CYCLE_1) | instskip(NEXT) | instid1(VALU_DEP_1)
	v_dual_cndmask_b32 v5, v5, v3, s0 :: v_dual_min_i32 v7, v6, v1
	v_dual_cndmask_b32 v4, v4, v2, s0 :: v_dual_cndmask_b32 v1, v1, v7, s2
	s_delay_alu instid0(VALU_DEP_1)
	v_cndmask_b32_e64 v1, v1, v6, s0
.LBB3_30:
	s_or_b32 exec_lo, exec_lo, s3
	s_delay_alu instid0(SALU_CYCLE_1)
	s_mov_b32 s1, exec_lo
	v_cmpx_eq_u32_e32 0, v16
	s_cbranch_execz .LBB3_32
; %bb.31:
	s_wait_dscnt 0x1
	v_lshrrev_b32_e32 v2, 1, v0
	s_delay_alu instid0(VALU_DEP_1)
	v_and_b32_e32 v2, 0x1f0, v2
	ds_store_b32 v2, v1
	ds_store_b64 v2, v[4:5] offset:8
.LBB3_32:
	s_or_b32 exec_lo, exec_lo, s1
	s_wait_dscnt 0x0
	v_mov_b64_e32 v[2:3], 0
	v_mov_b32_e32 v1, 0
	s_barrier_signal -1
	s_barrier_wait -1
	s_and_saveexec_b32 s0, vcc_lo
	s_cbranch_execz .LBB3_34
; %bb.33:
	ds_load_b32 v1, v10
	ds_load_b64 v[2:3], v10 offset:8
.LBB3_34:
	s_or_b32 exec_lo, exec_lo, s0
	s_and_saveexec_b32 s2, vcc_lo
	s_cbranch_execz .LBB3_54
; %bb.35:
	s_wait_dscnt 0x1
	ds_bpermute_b32 v8, v11, v1
	s_wait_dscnt 0x1
	ds_bpermute_b32 v6, v11, v2
	ds_bpermute_b32 v7, v11, v3
	v_mov_b64_e32 v[4:5], v[2:3]
	s_mov_b32 s1, exec_lo
	s_wait_dscnt 0x2
	v_cmpx_ne_u32_e32 0, v8
	s_cbranch_execz .LBB3_39
; %bb.36:
	s_wait_dscnt 0x0
	v_cmp_nlt_f64_e32 vcc_lo, v[2:3], v[6:7]
	v_cmp_ne_u32_e64 s0, 0, v1
	v_mov_b64_e32 v[4:5], v[6:7]
	s_and_b32 s3, s0, vcc_lo
	s_delay_alu instid0(SALU_CYCLE_1)
	s_and_saveexec_b32 s0, s3
	s_cbranch_execz .LBB3_38
; %bb.37:
	v_cmp_eq_f64_e32 vcc_lo, v[2:3], v[6:7]
	v_dual_mov_b32 v6, v2 :: v_dual_min_i32 v8, v8, v1
	v_mov_b64_e32 v[4:5], v[2:3]
	s_delay_alu instid0(VALU_DEP_2)
	v_dual_mov_b32 v7, v3 :: v_dual_cndmask_b32 v8, v1, v8
.LBB3_38:
	s_or_b32 exec_lo, exec_lo, s0
	s_delay_alu instid0(VALU_DEP_1) | instskip(NEXT) | instid1(VALU_DEP_2)
	v_dual_mov_b32 v3, v7 :: v_dual_mov_b32 v2, v6
	v_mov_b32_e32 v1, v8
.LBB3_39:
	s_or_b32 exec_lo, exec_lo, s1
	ds_bpermute_b32 v10, v12, v1
	s_wait_dscnt 0x2
	ds_bpermute_b32 v6, v12, v2
	s_wait_dscnt 0x2
	ds_bpermute_b32 v7, v12, v3
	s_mov_b32 s1, exec_lo
	s_wait_dscnt 0x2
	v_cmpx_ne_u32_e32 0, v10
	s_cbranch_execz .LBB3_43
; %bb.40:
	s_wait_dscnt 0x0
	v_cmp_nlt_f64_e32 vcc_lo, v[4:5], v[6:7]
	v_cmp_ne_u32_e64 s0, 0, v1
	v_mov_b64_e32 v[8:9], v[6:7]
	s_and_b32 s3, s0, vcc_lo
	s_delay_alu instid0(SALU_CYCLE_1)
	s_and_saveexec_b32 s0, s3
	s_cbranch_execz .LBB3_42
; %bb.41:
	v_cmp_eq_f64_e32 vcc_lo, v[4:5], v[6:7]
	v_dual_mov_b32 v7, v3 :: v_dual_min_i32 v10, v10, v1
	v_mov_b64_e32 v[8:9], v[4:5]
	s_delay_alu instid0(VALU_DEP_2)
	v_dual_mov_b32 v6, v2 :: v_dual_cndmask_b32 v10, v1, v10, vcc_lo
.LBB3_42:
	s_or_b32 exec_lo, exec_lo, s0
	s_delay_alu instid0(VALU_DEP_1) | instskip(NEXT) | instid1(VALU_DEP_2)
	v_mov_b64_e32 v[4:5], v[8:9]
	v_dual_mov_b32 v3, v7 :: v_dual_mov_b32 v2, v6
	s_delay_alu instid0(VALU_DEP_3)
	v_mov_b32_e32 v1, v10
.LBB3_43:
	s_or_b32 exec_lo, exec_lo, s1
	ds_bpermute_b32 v10, v13, v1
	s_wait_dscnt 0x2
	ds_bpermute_b32 v6, v13, v2
	s_wait_dscnt 0x2
	ds_bpermute_b32 v7, v13, v3
	s_mov_b32 s1, exec_lo
	s_wait_dscnt 0x2
	v_cmpx_ne_u32_e32 0, v10
	s_cbranch_execz .LBB3_47
; %bb.44:
	s_wait_dscnt 0x0
	v_cmp_nlt_f64_e32 vcc_lo, v[4:5], v[6:7]
	v_cmp_ne_u32_e64 s0, 0, v1
	v_mov_b64_e32 v[8:9], v[6:7]
	s_and_b32 s3, s0, vcc_lo
	s_delay_alu instid0(SALU_CYCLE_1)
	s_and_saveexec_b32 s0, s3
	s_cbranch_execz .LBB3_46
; %bb.45:
	v_cmp_eq_f64_e32 vcc_lo, v[4:5], v[6:7]
	v_dual_mov_b32 v7, v3 :: v_dual_min_i32 v10, v10, v1
	v_mov_b64_e32 v[8:9], v[4:5]
	s_delay_alu instid0(VALU_DEP_2)
	v_dual_mov_b32 v6, v2 :: v_dual_cndmask_b32 v10, v1, v10, vcc_lo
.LBB3_46:
	s_or_b32 exec_lo, exec_lo, s0
	s_delay_alu instid0(VALU_DEP_1) | instskip(NEXT) | instid1(VALU_DEP_2)
	v_mov_b64_e32 v[4:5], v[8:9]
	v_dual_mov_b32 v3, v7 :: v_dual_mov_b32 v2, v6
	s_delay_alu instid0(VALU_DEP_3)
	v_mov_b32_e32 v1, v10
.LBB3_47:
	;; [unrolled: 33-line block ×3, first 2 shown]
	s_or_b32 exec_lo, exec_lo, s1
	s_wait_dscnt 0x1
	ds_bpermute_b32 v6, v15, v1
	ds_bpermute_b32 v2, v15, v2
	;; [unrolled: 1-line block ×3, first 2 shown]
	s_mov_b32 s3, exec_lo
	s_wait_dscnt 0x2
	v_cmpx_ne_u32_e32 0, v6
	s_cbranch_execz .LBB3_53
; %bb.52:
	s_wait_dscnt 0x0
	v_cmp_lt_f64_e32 vcc_lo, v[4:5], v[2:3]
	v_cmp_eq_f64_e64 s1, v[4:5], v[2:3]
	v_cmp_eq_u32_e64 s0, 0, v1
	s_or_b32 vcc_lo, s0, vcc_lo
	v_min_i32_e32 v7, v6, v1
	s_delay_alu instid0(VALU_DEP_1) | instskip(NEXT) | instid1(VALU_DEP_1)
	v_cndmask_b32_e64 v1, v1, v7, s1
	v_cndmask_b32_e32 v1, v1, v6, vcc_lo
.LBB3_53:
	s_or_b32 exec_lo, exec_lo, s3
.LBB3_54:
	s_delay_alu instid0(SALU_CYCLE_1) | instskip(NEXT) | instid1(SALU_CYCLE_1)
	s_or_b32 exec_lo, exec_lo, s2
	s_mov_b32 s0, exec_lo
	v_cmpx_eq_u32_e32 0, v0
	s_cbranch_execz .LBB3_56
; %bb.55:
	s_bfe_u32 s0, ttmp6, 0x4000c
	s_and_b32 s1, ttmp6, 15
	s_add_co_i32 s0, s0, 1
	s_delay_alu instid0(SALU_CYCLE_1) | instskip(NEXT) | instid1(SALU_CYCLE_1)
	s_mul_i32 s0, ttmp9, s0
	s_add_co_i32 s1, s1, s0
	s_cmp_eq_u32 s8, 0
	s_cselect_b32 s0, ttmp9, s1
	s_delay_alu instid0(SALU_CYCLE_1)
	v_mov_b32_e32 v0, s0
	s_wait_dscnt 0x1
	global_store_b32 v0, v1, s[6:7] scale_offset
.LBB3_56:
	s_endpgm
	.section	.rodata,"a",@progbits
	.p2align	6, 0x0
	.amdhsa_kernel _ZL32rocblas_iamax_iamin_kernel_part2ILi1024E19rocblas_reduce_amax21rocblas_index_value_tIdEiEviPT1_PT2_
		.amdhsa_group_segment_fixed_size 512
		.amdhsa_private_segment_fixed_size 0
		.amdhsa_kernarg_size 24
		.amdhsa_user_sgpr_count 2
		.amdhsa_user_sgpr_dispatch_ptr 0
		.amdhsa_user_sgpr_queue_ptr 0
		.amdhsa_user_sgpr_kernarg_segment_ptr 1
		.amdhsa_user_sgpr_dispatch_id 0
		.amdhsa_user_sgpr_kernarg_preload_length 0
		.amdhsa_user_sgpr_kernarg_preload_offset 0
		.amdhsa_user_sgpr_private_segment_size 0
		.amdhsa_wavefront_size32 1
		.amdhsa_uses_dynamic_stack 0
		.amdhsa_enable_private_segment 0
		.amdhsa_system_sgpr_workgroup_id_x 1
		.amdhsa_system_sgpr_workgroup_id_y 0
		.amdhsa_system_sgpr_workgroup_id_z 0
		.amdhsa_system_sgpr_workgroup_info 0
		.amdhsa_system_vgpr_workitem_id 0
		.amdhsa_next_free_vgpr 18
		.amdhsa_next_free_sgpr 11
		.amdhsa_named_barrier_count 0
		.amdhsa_reserve_vcc 1
		.amdhsa_float_round_mode_32 0
		.amdhsa_float_round_mode_16_64 0
		.amdhsa_float_denorm_mode_32 3
		.amdhsa_float_denorm_mode_16_64 3
		.amdhsa_fp16_overflow 0
		.amdhsa_memory_ordered 1
		.amdhsa_forward_progress 1
		.amdhsa_inst_pref_size 17
		.amdhsa_round_robin_scheduling 0
		.amdhsa_exception_fp_ieee_invalid_op 0
		.amdhsa_exception_fp_denorm_src 0
		.amdhsa_exception_fp_ieee_div_zero 0
		.amdhsa_exception_fp_ieee_overflow 0
		.amdhsa_exception_fp_ieee_underflow 0
		.amdhsa_exception_fp_ieee_inexact 0
		.amdhsa_exception_int_div_zero 0
	.end_amdhsa_kernel
	.section	.text._ZL32rocblas_iamax_iamin_kernel_part2ILi1024E19rocblas_reduce_amax21rocblas_index_value_tIdEiEviPT1_PT2_,"axG",@progbits,_ZL32rocblas_iamax_iamin_kernel_part2ILi1024E19rocblas_reduce_amax21rocblas_index_value_tIdEiEviPT1_PT2_,comdat
.Lfunc_end3:
	.size	_ZL32rocblas_iamax_iamin_kernel_part2ILi1024E19rocblas_reduce_amax21rocblas_index_value_tIdEiEviPT1_PT2_, .Lfunc_end3-_ZL32rocblas_iamax_iamin_kernel_part2ILi1024E19rocblas_reduce_amax21rocblas_index_value_tIdEiEviPT1_PT2_
                                        ; -- End function
	.set _ZL32rocblas_iamax_iamin_kernel_part2ILi1024E19rocblas_reduce_amax21rocblas_index_value_tIdEiEviPT1_PT2_.num_vgpr, 18
	.set _ZL32rocblas_iamax_iamin_kernel_part2ILi1024E19rocblas_reduce_amax21rocblas_index_value_tIdEiEviPT1_PT2_.num_agpr, 0
	.set _ZL32rocblas_iamax_iamin_kernel_part2ILi1024E19rocblas_reduce_amax21rocblas_index_value_tIdEiEviPT1_PT2_.numbered_sgpr, 11
	.set _ZL32rocblas_iamax_iamin_kernel_part2ILi1024E19rocblas_reduce_amax21rocblas_index_value_tIdEiEviPT1_PT2_.num_named_barrier, 0
	.set _ZL32rocblas_iamax_iamin_kernel_part2ILi1024E19rocblas_reduce_amax21rocblas_index_value_tIdEiEviPT1_PT2_.private_seg_size, 0
	.set _ZL32rocblas_iamax_iamin_kernel_part2ILi1024E19rocblas_reduce_amax21rocblas_index_value_tIdEiEviPT1_PT2_.uses_vcc, 1
	.set _ZL32rocblas_iamax_iamin_kernel_part2ILi1024E19rocblas_reduce_amax21rocblas_index_value_tIdEiEviPT1_PT2_.uses_flat_scratch, 0
	.set _ZL32rocblas_iamax_iamin_kernel_part2ILi1024E19rocblas_reduce_amax21rocblas_index_value_tIdEiEviPT1_PT2_.has_dyn_sized_stack, 0
	.set _ZL32rocblas_iamax_iamin_kernel_part2ILi1024E19rocblas_reduce_amax21rocblas_index_value_tIdEiEviPT1_PT2_.has_recursion, 0
	.set _ZL32rocblas_iamax_iamin_kernel_part2ILi1024E19rocblas_reduce_amax21rocblas_index_value_tIdEiEviPT1_PT2_.has_indirect_call, 0
	.section	.AMDGPU.csdata,"",@progbits
; Kernel info:
; codeLenInByte = 2160
; TotalNumSgprs: 13
; NumVgprs: 18
; ScratchSize: 0
; MemoryBound: 0
; FloatMode: 240
; IeeeMode: 1
; LDSByteSize: 512 bytes/workgroup (compile time only)
; SGPRBlocks: 0
; VGPRBlocks: 1
; NumSGPRsForWavesPerEU: 13
; NumVGPRsForWavesPerEU: 18
; NamedBarCnt: 0
; Occupancy: 16
; WaveLimiterHint : 0
; COMPUTE_PGM_RSRC2:SCRATCH_EN: 0
; COMPUTE_PGM_RSRC2:USER_SGPR: 2
; COMPUTE_PGM_RSRC2:TRAP_HANDLER: 0
; COMPUTE_PGM_RSRC2:TGID_X_EN: 1
; COMPUTE_PGM_RSRC2:TGID_Y_EN: 0
; COMPUTE_PGM_RSRC2:TGID_Z_EN: 0
; COMPUTE_PGM_RSRC2:TIDIG_COMP_CNT: 0
	.section	.text._ZL32rocblas_iamax_iamin_kernel_part1ILi1024E23rocblas_fetch_amax_aminIfE19rocblas_reduce_amaxPK19rocblas_complex_numIfE21rocblas_index_value_tIfEEviiT2_liliPT3_,"axG",@progbits,_ZL32rocblas_iamax_iamin_kernel_part1ILi1024E23rocblas_fetch_amax_aminIfE19rocblas_reduce_amaxPK19rocblas_complex_numIfE21rocblas_index_value_tIfEEviiT2_liliPT3_,comdat
	.globl	_ZL32rocblas_iamax_iamin_kernel_part1ILi1024E23rocblas_fetch_amax_aminIfE19rocblas_reduce_amaxPK19rocblas_complex_numIfE21rocblas_index_value_tIfEEviiT2_liliPT3_ ; -- Begin function _ZL32rocblas_iamax_iamin_kernel_part1ILi1024E23rocblas_fetch_amax_aminIfE19rocblas_reduce_amaxPK19rocblas_complex_numIfE21rocblas_index_value_tIfEEviiT2_liliPT3_
	.p2align	8
	.type	_ZL32rocblas_iamax_iamin_kernel_part1ILi1024E23rocblas_fetch_amax_aminIfE19rocblas_reduce_amaxPK19rocblas_complex_numIfE21rocblas_index_value_tIfEEviiT2_liliPT3_,@function
_ZL32rocblas_iamax_iamin_kernel_part1ILi1024E23rocblas_fetch_amax_aminIfE19rocblas_reduce_amaxPK19rocblas_complex_numIfE21rocblas_index_value_tIfEEviiT2_liliPT3_: ; @_ZL32rocblas_iamax_iamin_kernel_part1ILi1024E23rocblas_fetch_amax_aminIfE19rocblas_reduce_amaxPK19rocblas_complex_numIfE21rocblas_index_value_tIfEEviiT2_liliPT3_
; %bb.0:
	s_load_b32 s14, s[0:1], 0x28
	s_bfe_u32 s2, ttmp6, 0x40014
	s_lshr_b32 s3, ttmp7, 16
	s_add_co_i32 s2, s2, 1
	s_bfe_u32 s5, ttmp6, 0x40008
	s_mul_i32 s4, s3, s2
	s_getreg_b32 s2, hwreg(HW_REG_IB_STS2, 6, 4)
	s_add_co_i32 s5, s5, s4
	s_cmp_eq_u32 s2, 0
	s_mov_b32 s9, 0
	s_cselect_b32 s8, s3, s5
	s_wait_kmcnt 0x0
	s_cmp_ge_u32 s8, s14
	s_cbranch_scc1 .LBB4_47
; %bb.1:
	s_clause 0x1
	s_load_b32 s16, s[0:1], 0x18
	s_load_b128 s[4:7], s[0:1], 0x8
	s_bfe_u32 s3, ttmp6, 0x4000c
	s_and_b32 s15, ttmp6, 15
	s_add_co_i32 s3, s3, 1
	v_dual_mov_b32 v3, 0 :: v_dual_bitop2_b32 v8, 31, v0 bitop3:0x40
	s_mul_i32 s3, ttmp9, s3
	v_mbcnt_lo_u32_b32 v11, -1, 0
	s_add_co_i32 s15, s15, s3
	s_clause 0x1
	s_load_b64 s[10:11], s[0:1], 0x20
	s_load_b64 s[12:13], s[0:1], 0x30
	v_cmp_gt_u32_e32 vcc_lo, 32, v0
	v_lshl_or_b32 v7, v11, 2, 64
	s_wait_kmcnt 0x0
	s_ashr_i32 s17, s16, 31
	s_lshl_b64 s[6:7], s[6:7], 3
	s_cmp_eq_u32 s2, 0
	s_load_b64 s[2:3], s[0:1], 0x0
	s_cselect_b32 s15, ttmp9, s15
	s_wait_xcnt 0x0
	v_cmp_gt_u32_e64 s1, 24, v11
	v_lshl_or_b32 v2, s15, 10, v0
	v_cmp_eq_u32_e64 s0, 0, v0
	s_add_nc_u64 s[4:5], s[4:5], s[6:7]
	v_lshlrev_b32_e32 v6, 3, v8
	v_cndmask_b32_e64 v10, 0, 8, s1
	v_mul_u64_e32 v[4:5], s[16:17], v[2:3]
	v_cmp_gt_u32_e64 s1, 28, v11
	s_delay_alu instid0(VALU_DEP_1) | instskip(SKIP_1) | instid1(VALU_DEP_1)
	v_cndmask_b32_e64 v12, 0, 4, s1
	v_cmp_gt_u32_e64 s1, 30, v11
	v_cndmask_b32_e64 v13, 0, 2, s1
	v_cmp_ne_u32_e64 s1, 31, v11
	s_wait_kmcnt 0x0
	s_mov_b32 s16, s2
	s_ashr_i32 s17, s2, 31
	s_lshl_b32 s7, s3, 16
	v_cmp_gt_i64_e64 s2, s[16:17], v[2:3]
	v_add_co_ci_u32_e64 v14, null, 0, v11, s1
	v_lshrrev_b32_e32 v9, 2, v0
	v_mov_b64_e32 v[0:1], 0
	v_cmp_eq_u32_e64 s1, 0, v8
	s_delay_alu instid0(VALU_DEP_3)
	v_and_b32_e32 v8, 0xf8, v9
	v_add_lshl_u32 v9, v10, v11, 2
	v_add_lshl_u32 v10, v12, v11, 2
	;; [unrolled: 1-line block ×3, first 2 shown]
	v_lshlrev_b32_e32 v12, 2, v14
	v_add_nc_u32_e32 v13, 1, v2
	v_lshl_add_u64 v[2:3], v[4:5], 3, s[4:5]
	s_mul_i32 s4, s8, s3
	s_delay_alu instid0(SALU_CYCLE_1)
	s_add_co_i32 s6, s15, s4
	s_branch .LBB4_3
.LBB4_2:                                ;   in Loop: Header=BB4_3 Depth=1
	s_wait_xcnt 0x0
	s_or_b32 exec_lo, exec_lo, s3
	s_add_co_i32 s8, s8, 0x10000
	s_add_co_i32 s6, s6, s7
	s_cmp_lt_u32 s8, s14
	s_cbranch_scc0 .LBB4_47
.LBB4_3:                                ; =>This Inner Loop Header: Depth=1
	s_wait_dscnt 0x0
	v_mov_b32_e32 v4, 0
	s_and_saveexec_b32 s4, s2
	s_cbranch_execz .LBB4_5
; %bb.4:                                ;   in Loop: Header=BB4_3 Depth=1
	s_mul_u64 s[16:17], s[10:11], s[8:9]
	s_delay_alu instid0(SALU_CYCLE_1) | instskip(SKIP_4) | instid1(VALU_DEP_1)
	v_lshl_add_u64 v[4:5], s[16:17], 3, v[2:3]
	global_load_b64 v[4:5], v[4:5], off
	s_wait_loadcnt 0x0
	v_cmp_gt_f32_e64 s3, 0, v5
	s_wait_xcnt 0x0
	v_cndmask_b32_e64 v5, v5, -v5, s3
	v_cmp_gt_f32_e64 s3, 0, v4
	s_delay_alu instid0(VALU_DEP_1) | instskip(NEXT) | instid1(VALU_DEP_1)
	v_cndmask_b32_e64 v4, v4, -v4, s3
	v_dual_add_f32 v5, v4, v5 :: v_dual_mov_b32 v4, v13
.LBB4_5:                                ;   in Loop: Header=BB4_3 Depth=1
	s_or_b32 exec_lo, exec_lo, s4
	s_and_saveexec_b32 s3, vcc_lo
; %bb.6:                                ;   in Loop: Header=BB4_3 Depth=1
	ds_store_b64 v6, v[0:1]
; %bb.7:                                ;   in Loop: Header=BB4_3 Depth=1
	s_or_b32 exec_lo, exec_lo, s3
	ds_bpermute_b32 v14, v7, v4
	ds_bpermute_b32 v15, v7, v5
	s_mov_b32 s15, exec_lo
	s_wait_dscnt 0x0
	s_barrier_signal -1
	s_barrier_wait -1
	v_cmpx_ne_u32_e32 0, v14
; %bb.8:                                ;   in Loop: Header=BB4_3 Depth=1
	v_cmp_eq_u32_e64 s3, 0, v4
	v_cmp_lt_f32_e64 s4, v5, v15
	v_cmp_eq_f32_e64 s5, v5, v15
	s_or_b32 s3, s3, s4
	s_delay_alu instid0(SALU_CYCLE_1) | instskip(NEXT) | instid1(VALU_DEP_1)
	v_dual_cndmask_b32 v5, v5, v15, s3 :: v_dual_min_i32 v16, v14, v4
	v_cndmask_b32_e64 v4, v4, v16, s5
	s_delay_alu instid0(VALU_DEP_1)
	v_cndmask_b32_e64 v4, v4, v14, s3
; %bb.9:                                ;   in Loop: Header=BB4_3 Depth=1
	s_or_b32 exec_lo, exec_lo, s15
	ds_bpermute_b32 v15, v9, v4
	ds_bpermute_b32 v16, v9, v5
	v_mov_b32_e32 v14, v5
	s_mov_b32 s5, exec_lo
	s_wait_dscnt 0x1
	v_cmpx_ne_u32_e32 0, v15
	s_cbranch_execz .LBB4_13
; %bb.10:                               ;   in Loop: Header=BB4_3 Depth=1
	v_cmp_ne_u32_e64 s3, 0, v4
	s_wait_dscnt 0x0
	v_cmp_nlt_f32_e64 s4, v5, v16
	s_and_b32 s3, s3, s4
	s_delay_alu instid0(SALU_CYCLE_1)
	s_and_saveexec_b32 s4, s3
; %bb.11:                               ;   in Loop: Header=BB4_3 Depth=1
	v_min_i32_e32 v14, v15, v4
	v_cmp_eq_f32_e64 s3, v5, v16
	s_delay_alu instid0(VALU_DEP_1)
	v_dual_mov_b32 v16, v5 :: v_dual_cndmask_b32 v15, v4, v14, s3
; %bb.12:                               ;   in Loop: Header=BB4_3 Depth=1
	s_or_b32 exec_lo, exec_lo, s4
	s_delay_alu instid0(VALU_DEP_1)
	v_dual_mov_b32 v5, v16 :: v_dual_mov_b32 v4, v15
	v_mov_b32_e32 v14, v16
.LBB4_13:                               ;   in Loop: Header=BB4_3 Depth=1
	s_or_b32 exec_lo, exec_lo, s5
	ds_bpermute_b32 v15, v10, v4
	s_wait_dscnt 0x1
	ds_bpermute_b32 v16, v10, v5
	s_mov_b32 s5, exec_lo
	s_wait_dscnt 0x1
	v_cmpx_ne_u32_e32 0, v15
	s_cbranch_execz .LBB4_17
; %bb.14:                               ;   in Loop: Header=BB4_3 Depth=1
	v_cmp_ne_u32_e64 s3, 0, v4
	s_wait_dscnt 0x0
	v_cmp_nlt_f32_e64 s4, v14, v16
	v_mov_b32_e32 v17, v16
	s_and_b32 s3, s3, s4
	s_delay_alu instid0(SALU_CYCLE_1)
	s_and_saveexec_b32 s4, s3
; %bb.15:                               ;   in Loop: Header=BB4_3 Depth=1
	v_dual_mov_b32 v17, v14 :: v_dual_min_i32 v15, v15, v4
	v_cmp_eq_f32_e64 s3, v14, v16
	s_delay_alu instid0(VALU_DEP_1)
	v_dual_mov_b32 v16, v5 :: v_dual_cndmask_b32 v15, v4, v15, s3
; %bb.16:                               ;   in Loop: Header=BB4_3 Depth=1
	s_or_b32 exec_lo, exec_lo, s4
	s_delay_alu instid0(VALU_DEP_1)
	v_dual_mov_b32 v5, v16 :: v_dual_mov_b32 v4, v15
	v_mov_b32_e32 v14, v17
.LBB4_17:                               ;   in Loop: Header=BB4_3 Depth=1
	s_or_b32 exec_lo, exec_lo, s5
	ds_bpermute_b32 v15, v11, v4
	s_wait_dscnt 0x1
	ds_bpermute_b32 v16, v11, v5
	s_mov_b32 s5, exec_lo
	s_wait_dscnt 0x1
	v_cmpx_ne_u32_e32 0, v15
	s_cbranch_execz .LBB4_21
; %bb.18:                               ;   in Loop: Header=BB4_3 Depth=1
	v_cmp_ne_u32_e64 s3, 0, v4
	s_wait_dscnt 0x0
	v_cmp_nlt_f32_e64 s4, v14, v16
	v_mov_b32_e32 v17, v16
	s_and_b32 s3, s3, s4
	s_delay_alu instid0(SALU_CYCLE_1)
	s_and_saveexec_b32 s4, s3
; %bb.19:                               ;   in Loop: Header=BB4_3 Depth=1
	v_dual_mov_b32 v17, v14 :: v_dual_min_i32 v15, v15, v4
	v_cmp_eq_f32_e64 s3, v14, v16
	s_delay_alu instid0(VALU_DEP_1)
	v_dual_mov_b32 v16, v5 :: v_dual_cndmask_b32 v15, v4, v15, s3
; %bb.20:                               ;   in Loop: Header=BB4_3 Depth=1
	s_or_b32 exec_lo, exec_lo, s4
	s_delay_alu instid0(VALU_DEP_1)
	v_dual_mov_b32 v5, v16 :: v_dual_mov_b32 v4, v15
	v_mov_b32_e32 v14, v17
.LBB4_21:                               ;   in Loop: Header=BB4_3 Depth=1
	s_or_b32 exec_lo, exec_lo, s5
	ds_bpermute_b32 v15, v12, v4
	s_wait_dscnt 0x1
	ds_bpermute_b32 v16, v12, v5
	s_mov_b32 s15, exec_lo
	s_wait_dscnt 0x1
	v_cmpx_ne_u32_e32 0, v15
	s_cbranch_execz .LBB4_23
; %bb.22:                               ;   in Loop: Header=BB4_3 Depth=1
	v_cmp_eq_u32_e64 s3, 0, v4
	s_wait_dscnt 0x0
	v_cmp_lt_f32_e64 s4, v14, v16
	v_cmp_eq_f32_e64 s5, v14, v16
	s_or_b32 s3, s3, s4
	v_min_i32_e32 v17, v15, v4
	s_delay_alu instid0(VALU_DEP_1) | instskip(NEXT) | instid1(VALU_DEP_1)
	v_dual_cndmask_b32 v5, v5, v16, s3 :: v_dual_cndmask_b32 v4, v4, v17, s5
	v_cndmask_b32_e64 v4, v4, v15, s3
.LBB4_23:                               ;   in Loop: Header=BB4_3 Depth=1
	s_or_b32 exec_lo, exec_lo, s15
	s_and_saveexec_b32 s3, s1
; %bb.24:                               ;   in Loop: Header=BB4_3 Depth=1
	ds_store_b64 v8, v[4:5]
; %bb.25:                               ;   in Loop: Header=BB4_3 Depth=1
	s_or_b32 exec_lo, exec_lo, s3
	v_dual_mov_b32 v4, 0 :: v_dual_mov_b32 v5, 0
	s_wait_dscnt 0x0
	s_barrier_signal -1
	s_barrier_wait -1
	s_and_saveexec_b32 s3, vcc_lo
	s_cbranch_execnz .LBB4_28
; %bb.26:                               ;   in Loop: Header=BB4_3 Depth=1
	s_or_b32 exec_lo, exec_lo, s3
	s_and_saveexec_b32 s15, vcc_lo
	s_cbranch_execnz .LBB4_29
.LBB4_27:                               ;   in Loop: Header=BB4_3 Depth=1
	s_or_b32 exec_lo, exec_lo, s15
	s_and_saveexec_b32 s3, s0
	s_cbranch_execz .LBB4_2
	s_branch .LBB4_46
.LBB4_28:                               ;   in Loop: Header=BB4_3 Depth=1
	ds_load_b64 v[4:5], v6
	s_or_b32 exec_lo, exec_lo, s3
	s_and_saveexec_b32 s15, vcc_lo
	s_cbranch_execz .LBB4_27
.LBB4_29:                               ;   in Loop: Header=BB4_3 Depth=1
	s_wait_dscnt 0x0
	ds_bpermute_b32 v14, v7, v4
	ds_bpermute_b32 v15, v7, v5
	s_mov_b32 s16, exec_lo
	s_wait_dscnt 0x1
	v_cmpx_ne_u32_e32 0, v14
	s_cbranch_execz .LBB4_31
; %bb.30:                               ;   in Loop: Header=BB4_3 Depth=1
	v_cmp_eq_u32_e64 s3, 0, v4
	s_wait_dscnt 0x0
	v_cmp_lt_f32_e64 s4, v5, v15
	v_cmp_eq_f32_e64 s5, v5, v15
	s_or_b32 s3, s3, s4
	s_delay_alu instid0(SALU_CYCLE_1) | instskip(NEXT) | instid1(VALU_DEP_1)
	v_dual_cndmask_b32 v5, v5, v15, s3 :: v_dual_min_i32 v16, v14, v4
	v_cndmask_b32_e64 v4, v4, v16, s5
	s_delay_alu instid0(VALU_DEP_1)
	v_cndmask_b32_e64 v4, v4, v14, s3
.LBB4_31:                               ;   in Loop: Header=BB4_3 Depth=1
	s_or_b32 exec_lo, exec_lo, s16
	s_wait_dscnt 0x0
	ds_bpermute_b32 v15, v9, v4
	ds_bpermute_b32 v16, v9, v5
	v_mov_b32_e32 v14, v5
	s_mov_b32 s5, exec_lo
	s_wait_dscnt 0x1
	v_cmpx_ne_u32_e32 0, v15
	s_cbranch_execz .LBB4_35
; %bb.32:                               ;   in Loop: Header=BB4_3 Depth=1
	v_cmp_ne_u32_e64 s3, 0, v4
	s_wait_dscnt 0x0
	v_cmp_nlt_f32_e64 s4, v5, v16
	s_and_b32 s3, s3, s4
	s_delay_alu instid0(SALU_CYCLE_1)
	s_and_saveexec_b32 s4, s3
; %bb.33:                               ;   in Loop: Header=BB4_3 Depth=1
	v_min_i32_e32 v14, v15, v4
	v_cmp_eq_f32_e64 s3, v5, v16
	s_delay_alu instid0(VALU_DEP_1)
	v_dual_mov_b32 v16, v5 :: v_dual_cndmask_b32 v15, v4, v14, s3
; %bb.34:                               ;   in Loop: Header=BB4_3 Depth=1
	s_or_b32 exec_lo, exec_lo, s4
	s_delay_alu instid0(VALU_DEP_1)
	v_dual_mov_b32 v5, v16 :: v_dual_mov_b32 v4, v15
	v_mov_b32_e32 v14, v16
.LBB4_35:                               ;   in Loop: Header=BB4_3 Depth=1
	s_or_b32 exec_lo, exec_lo, s5
	ds_bpermute_b32 v15, v10, v4
	s_wait_dscnt 0x1
	ds_bpermute_b32 v16, v10, v5
	s_mov_b32 s5, exec_lo
	s_wait_dscnt 0x1
	v_cmpx_ne_u32_e32 0, v15
	s_cbranch_execz .LBB4_39
; %bb.36:                               ;   in Loop: Header=BB4_3 Depth=1
	v_cmp_ne_u32_e64 s3, 0, v4
	s_wait_dscnt 0x0
	v_cmp_nlt_f32_e64 s4, v14, v16
	v_mov_b32_e32 v17, v16
	s_and_b32 s3, s3, s4
	s_delay_alu instid0(SALU_CYCLE_1)
	s_and_saveexec_b32 s4, s3
; %bb.37:                               ;   in Loop: Header=BB4_3 Depth=1
	v_dual_mov_b32 v17, v14 :: v_dual_min_i32 v15, v15, v4
	v_cmp_eq_f32_e64 s3, v14, v16
	s_delay_alu instid0(VALU_DEP_1)
	v_dual_mov_b32 v16, v5 :: v_dual_cndmask_b32 v15, v4, v15, s3
; %bb.38:                               ;   in Loop: Header=BB4_3 Depth=1
	s_or_b32 exec_lo, exec_lo, s4
	s_delay_alu instid0(VALU_DEP_1)
	v_dual_mov_b32 v5, v16 :: v_dual_mov_b32 v4, v15
	v_mov_b32_e32 v14, v17
.LBB4_39:                               ;   in Loop: Header=BB4_3 Depth=1
	s_or_b32 exec_lo, exec_lo, s5
	ds_bpermute_b32 v15, v11, v4
	s_wait_dscnt 0x1
	ds_bpermute_b32 v16, v11, v5
	s_mov_b32 s5, exec_lo
	s_wait_dscnt 0x1
	v_cmpx_ne_u32_e32 0, v15
	s_cbranch_execz .LBB4_43
; %bb.40:                               ;   in Loop: Header=BB4_3 Depth=1
	v_cmp_ne_u32_e64 s3, 0, v4
	s_wait_dscnt 0x0
	v_cmp_nlt_f32_e64 s4, v14, v16
	v_mov_b32_e32 v17, v16
	s_and_b32 s3, s3, s4
	s_delay_alu instid0(SALU_CYCLE_1)
	s_and_saveexec_b32 s4, s3
; %bb.41:                               ;   in Loop: Header=BB4_3 Depth=1
	v_dual_mov_b32 v17, v14 :: v_dual_min_i32 v15, v15, v4
	v_cmp_eq_f32_e64 s3, v14, v16
	s_delay_alu instid0(VALU_DEP_1)
	v_dual_mov_b32 v16, v5 :: v_dual_cndmask_b32 v15, v4, v15, s3
; %bb.42:                               ;   in Loop: Header=BB4_3 Depth=1
	s_or_b32 exec_lo, exec_lo, s4
	s_delay_alu instid0(VALU_DEP_1)
	v_dual_mov_b32 v5, v16 :: v_dual_mov_b32 v4, v15
	v_mov_b32_e32 v14, v17
.LBB4_43:                               ;   in Loop: Header=BB4_3 Depth=1
	s_or_b32 exec_lo, exec_lo, s5
	ds_bpermute_b32 v15, v12, v4
	s_wait_dscnt 0x1
	ds_bpermute_b32 v16, v12, v5
	s_mov_b32 s16, exec_lo
	s_wait_dscnt 0x1
	v_cmpx_ne_u32_e32 0, v15
	s_cbranch_execz .LBB4_45
; %bb.44:                               ;   in Loop: Header=BB4_3 Depth=1
	v_cmp_eq_u32_e64 s3, 0, v4
	s_wait_dscnt 0x0
	v_cmp_lt_f32_e64 s4, v14, v16
	v_cmp_eq_f32_e64 s5, v14, v16
	s_or_b32 s3, s3, s4
	v_min_i32_e32 v17, v15, v4
	s_delay_alu instid0(VALU_DEP_1) | instskip(NEXT) | instid1(VALU_DEP_1)
	v_dual_cndmask_b32 v5, v5, v16, s3 :: v_dual_cndmask_b32 v4, v4, v17, s5
	v_cndmask_b32_e64 v4, v4, v15, s3
.LBB4_45:                               ;   in Loop: Header=BB4_3 Depth=1
	s_or_b32 exec_lo, exec_lo, s16
	s_delay_alu instid0(SALU_CYCLE_1)
	s_or_b32 exec_lo, exec_lo, s15
	s_and_saveexec_b32 s3, s0
	s_cbranch_execz .LBB4_2
.LBB4_46:                               ;   in Loop: Header=BB4_3 Depth=1
	v_mov_b32_e32 v14, s6
	s_wait_dscnt 0x0
	global_store_b64 v14, v[4:5], s[12:13] scale_offset
	s_branch .LBB4_2
.LBB4_47:
	s_endpgm
	.section	.rodata,"a",@progbits
	.p2align	6, 0x0
	.amdhsa_kernel _ZL32rocblas_iamax_iamin_kernel_part1ILi1024E23rocblas_fetch_amax_aminIfE19rocblas_reduce_amaxPK19rocblas_complex_numIfE21rocblas_index_value_tIfEEviiT2_liliPT3_
		.amdhsa_group_segment_fixed_size 256
		.amdhsa_private_segment_fixed_size 0
		.amdhsa_kernarg_size 56
		.amdhsa_user_sgpr_count 2
		.amdhsa_user_sgpr_dispatch_ptr 0
		.amdhsa_user_sgpr_queue_ptr 0
		.amdhsa_user_sgpr_kernarg_segment_ptr 1
		.amdhsa_user_sgpr_dispatch_id 0
		.amdhsa_user_sgpr_kernarg_preload_length 0
		.amdhsa_user_sgpr_kernarg_preload_offset 0
		.amdhsa_user_sgpr_private_segment_size 0
		.amdhsa_wavefront_size32 1
		.amdhsa_uses_dynamic_stack 0
		.amdhsa_enable_private_segment 0
		.amdhsa_system_sgpr_workgroup_id_x 1
		.amdhsa_system_sgpr_workgroup_id_y 0
		.amdhsa_system_sgpr_workgroup_id_z 1
		.amdhsa_system_sgpr_workgroup_info 0
		.amdhsa_system_vgpr_workitem_id 0
		.amdhsa_next_free_vgpr 18
		.amdhsa_next_free_sgpr 18
		.amdhsa_named_barrier_count 0
		.amdhsa_reserve_vcc 1
		.amdhsa_float_round_mode_32 0
		.amdhsa_float_round_mode_16_64 0
		.amdhsa_float_denorm_mode_32 3
		.amdhsa_float_denorm_mode_16_64 3
		.amdhsa_fp16_overflow 0
		.amdhsa_memory_ordered 1
		.amdhsa_forward_progress 1
		.amdhsa_inst_pref_size 15
		.amdhsa_round_robin_scheduling 0
		.amdhsa_exception_fp_ieee_invalid_op 0
		.amdhsa_exception_fp_denorm_src 0
		.amdhsa_exception_fp_ieee_div_zero 0
		.amdhsa_exception_fp_ieee_overflow 0
		.amdhsa_exception_fp_ieee_underflow 0
		.amdhsa_exception_fp_ieee_inexact 0
		.amdhsa_exception_int_div_zero 0
	.end_amdhsa_kernel
	.section	.text._ZL32rocblas_iamax_iamin_kernel_part1ILi1024E23rocblas_fetch_amax_aminIfE19rocblas_reduce_amaxPK19rocblas_complex_numIfE21rocblas_index_value_tIfEEviiT2_liliPT3_,"axG",@progbits,_ZL32rocblas_iamax_iamin_kernel_part1ILi1024E23rocblas_fetch_amax_aminIfE19rocblas_reduce_amaxPK19rocblas_complex_numIfE21rocblas_index_value_tIfEEviiT2_liliPT3_,comdat
.Lfunc_end4:
	.size	_ZL32rocblas_iamax_iamin_kernel_part1ILi1024E23rocblas_fetch_amax_aminIfE19rocblas_reduce_amaxPK19rocblas_complex_numIfE21rocblas_index_value_tIfEEviiT2_liliPT3_, .Lfunc_end4-_ZL32rocblas_iamax_iamin_kernel_part1ILi1024E23rocblas_fetch_amax_aminIfE19rocblas_reduce_amaxPK19rocblas_complex_numIfE21rocblas_index_value_tIfEEviiT2_liliPT3_
                                        ; -- End function
	.set _ZL32rocblas_iamax_iamin_kernel_part1ILi1024E23rocblas_fetch_amax_aminIfE19rocblas_reduce_amaxPK19rocblas_complex_numIfE21rocblas_index_value_tIfEEviiT2_liliPT3_.num_vgpr, 18
	.set _ZL32rocblas_iamax_iamin_kernel_part1ILi1024E23rocblas_fetch_amax_aminIfE19rocblas_reduce_amaxPK19rocblas_complex_numIfE21rocblas_index_value_tIfEEviiT2_liliPT3_.num_agpr, 0
	.set _ZL32rocblas_iamax_iamin_kernel_part1ILi1024E23rocblas_fetch_amax_aminIfE19rocblas_reduce_amaxPK19rocblas_complex_numIfE21rocblas_index_value_tIfEEviiT2_liliPT3_.numbered_sgpr, 18
	.set _ZL32rocblas_iamax_iamin_kernel_part1ILi1024E23rocblas_fetch_amax_aminIfE19rocblas_reduce_amaxPK19rocblas_complex_numIfE21rocblas_index_value_tIfEEviiT2_liliPT3_.num_named_barrier, 0
	.set _ZL32rocblas_iamax_iamin_kernel_part1ILi1024E23rocblas_fetch_amax_aminIfE19rocblas_reduce_amaxPK19rocblas_complex_numIfE21rocblas_index_value_tIfEEviiT2_liliPT3_.private_seg_size, 0
	.set _ZL32rocblas_iamax_iamin_kernel_part1ILi1024E23rocblas_fetch_amax_aminIfE19rocblas_reduce_amaxPK19rocblas_complex_numIfE21rocblas_index_value_tIfEEviiT2_liliPT3_.uses_vcc, 1
	.set _ZL32rocblas_iamax_iamin_kernel_part1ILi1024E23rocblas_fetch_amax_aminIfE19rocblas_reduce_amaxPK19rocblas_complex_numIfE21rocblas_index_value_tIfEEviiT2_liliPT3_.uses_flat_scratch, 0
	.set _ZL32rocblas_iamax_iamin_kernel_part1ILi1024E23rocblas_fetch_amax_aminIfE19rocblas_reduce_amaxPK19rocblas_complex_numIfE21rocblas_index_value_tIfEEviiT2_liliPT3_.has_dyn_sized_stack, 0
	.set _ZL32rocblas_iamax_iamin_kernel_part1ILi1024E23rocblas_fetch_amax_aminIfE19rocblas_reduce_amaxPK19rocblas_complex_numIfE21rocblas_index_value_tIfEEviiT2_liliPT3_.has_recursion, 0
	.set _ZL32rocblas_iamax_iamin_kernel_part1ILi1024E23rocblas_fetch_amax_aminIfE19rocblas_reduce_amaxPK19rocblas_complex_numIfE21rocblas_index_value_tIfEEviiT2_liliPT3_.has_indirect_call, 0
	.section	.AMDGPU.csdata,"",@progbits
; Kernel info:
; codeLenInByte = 1864
; TotalNumSgprs: 20
; NumVgprs: 18
; ScratchSize: 0
; MemoryBound: 0
; FloatMode: 240
; IeeeMode: 1
; LDSByteSize: 256 bytes/workgroup (compile time only)
; SGPRBlocks: 0
; VGPRBlocks: 1
; NumSGPRsForWavesPerEU: 20
; NumVGPRsForWavesPerEU: 18
; NamedBarCnt: 0
; Occupancy: 16
; WaveLimiterHint : 0
; COMPUTE_PGM_RSRC2:SCRATCH_EN: 0
; COMPUTE_PGM_RSRC2:USER_SGPR: 2
; COMPUTE_PGM_RSRC2:TRAP_HANDLER: 0
; COMPUTE_PGM_RSRC2:TGID_X_EN: 1
; COMPUTE_PGM_RSRC2:TGID_Y_EN: 0
; COMPUTE_PGM_RSRC2:TGID_Z_EN: 1
; COMPUTE_PGM_RSRC2:TIDIG_COMP_CNT: 0
	.section	.text._ZL32rocblas_iamax_iamin_kernel_part1ILi1024E23rocblas_fetch_amax_aminIdE19rocblas_reduce_amaxPK19rocblas_complex_numIdE21rocblas_index_value_tIdEEviiT2_liliPT3_,"axG",@progbits,_ZL32rocblas_iamax_iamin_kernel_part1ILi1024E23rocblas_fetch_amax_aminIdE19rocblas_reduce_amaxPK19rocblas_complex_numIdE21rocblas_index_value_tIdEEviiT2_liliPT3_,comdat
	.globl	_ZL32rocblas_iamax_iamin_kernel_part1ILi1024E23rocblas_fetch_amax_aminIdE19rocblas_reduce_amaxPK19rocblas_complex_numIdE21rocblas_index_value_tIdEEviiT2_liliPT3_ ; -- Begin function _ZL32rocblas_iamax_iamin_kernel_part1ILi1024E23rocblas_fetch_amax_aminIdE19rocblas_reduce_amaxPK19rocblas_complex_numIdE21rocblas_index_value_tIdEEviiT2_liliPT3_
	.p2align	8
	.type	_ZL32rocblas_iamax_iamin_kernel_part1ILi1024E23rocblas_fetch_amax_aminIdE19rocblas_reduce_amaxPK19rocblas_complex_numIdE21rocblas_index_value_tIdEEviiT2_liliPT3_,@function
_ZL32rocblas_iamax_iamin_kernel_part1ILi1024E23rocblas_fetch_amax_aminIdE19rocblas_reduce_amaxPK19rocblas_complex_numIdE21rocblas_index_value_tIdEEviiT2_liliPT3_: ; @_ZL32rocblas_iamax_iamin_kernel_part1ILi1024E23rocblas_fetch_amax_aminIdE19rocblas_reduce_amaxPK19rocblas_complex_numIdE21rocblas_index_value_tIdEEviiT2_liliPT3_
; %bb.0:
	s_load_b32 s14, s[0:1], 0x28
	s_bfe_u32 s2, ttmp6, 0x40014
	s_lshr_b32 s3, ttmp7, 16
	s_add_co_i32 s2, s2, 1
	s_bfe_u32 s5, ttmp6, 0x40008
	s_mul_i32 s4, s3, s2
	s_getreg_b32 s2, hwreg(HW_REG_IB_STS2, 6, 4)
	s_add_co_i32 s5, s5, s4
	s_cmp_eq_u32 s2, 0
	s_mov_b32 s9, 0
	s_cselect_b32 s8, s3, s5
	s_wait_kmcnt 0x0
	s_cmp_ge_u32 s8, s14
	s_cbranch_scc1 .LBB5_51
; %bb.1:
	s_clause 0x1
	s_load_b32 s16, s[0:1], 0x18
	s_load_b128 s[4:7], s[0:1], 0x8
	s_bfe_u32 s3, ttmp6, 0x4000c
	s_and_b32 s15, ttmp6, 15
	s_add_co_i32 s3, s3, 1
	v_dual_mov_b32 v3, 0 :: v_dual_bitop2_b32 v6, 31, v0 bitop3:0x40
	s_mul_i32 s3, ttmp9, s3
	v_mbcnt_lo_u32_b32 v7, -1, 0
	s_add_co_i32 s15, s15, s3
	s_clause 0x1
	s_load_b64 s[10:11], s[0:1], 0x20
	s_load_b64 s[12:13], s[0:1], 0x30
	v_dual_lshrrev_b32 v8, 1, v0 :: v_dual_lshlrev_b32 v14, 4, v6
	v_cmp_gt_u32_e32 vcc_lo, 32, v0
	v_lshl_or_b32 v15, v7, 2, 64
	s_delay_alu instid0(VALU_DEP_3)
	v_and_b32_e32 v16, 0x1f0, v8
	s_wait_kmcnt 0x0
	s_ashr_i32 s17, s16, 31
	s_lshl_b64 s[6:7], s[6:7], 4
	s_cmp_eq_u32 s2, 0
	s_load_b64 s[2:3], s[0:1], 0x0
	s_cselect_b32 s15, ttmp9, s15
	s_wait_xcnt 0x0
	v_cmp_gt_u32_e64 s1, 24, v7
	v_lshl_or_b32 v2, s15, 10, v0
	v_cmp_eq_u32_e64 s0, 0, v0
	v_mov_b64_e32 v[0:1], 0
	s_add_nc_u64 s[4:5], s[4:5], s[6:7]
	v_cndmask_b32_e64 v9, 0, 8, s1
	v_mul_u64_e32 v[4:5], s[16:17], v[2:3]
	v_cmp_gt_u32_e64 s1, 28, v7
	s_delay_alu instid0(VALU_DEP_3) | instskip(NEXT) | instid1(VALU_DEP_2)
	v_add_lshl_u32 v17, v9, v7, 2
	v_cndmask_b32_e64 v10, 0, 4, s1
	v_cmp_gt_u32_e64 s1, 30, v7
	s_delay_alu instid0(VALU_DEP_2) | instskip(NEXT) | instid1(VALU_DEP_2)
	v_add_lshl_u32 v18, v10, v7, 2
	v_cndmask_b32_e64 v11, 0, 2, s1
	v_cmp_ne_u32_e64 s1, 31, v7
	s_wait_kmcnt 0x0
	s_mov_b32 s16, s2
	s_ashr_i32 s17, s2, 31
	s_delay_alu instid0(SALU_CYCLE_1) | instskip(SKIP_3) | instid1(VALU_DEP_3)
	v_cmp_gt_i64_e64 s2, s[16:17], v[2:3]
	v_add_co_ci_u32_e64 v12, null, 0, v7, s1
	v_cmp_eq_u32_e64 s1, 0, v6
	v_add_lshl_u32 v19, v11, v7, 2
	v_dual_add_nc_u32 v2, 1, v2 :: v_dual_lshlrev_b32 v20, 2, v12
	v_lshl_add_u64 v[4:5], v[4:5], 4, s[4:5]
	s_mul_i32 s4, s8, s3
	s_delay_alu instid0(SALU_CYCLE_1)
	s_add_co_i32 s6, s15, s4
	s_lshl_b32 s15, s3, 16
	s_branch .LBB5_3
.LBB5_2:                                ;   in Loop: Header=BB5_3 Depth=1
	s_wait_xcnt 0x0
	s_or_b32 exec_lo, exec_lo, s3
	s_add_co_i32 s8, s8, 0x10000
	s_add_co_i32 s6, s6, s15
	s_cmp_lt_u32 s8, s14
	s_cbranch_scc0 .LBB5_51
.LBB5_3:                                ; =>This Inner Loop Header: Depth=1
	s_wait_dscnt 0x1
	v_mov_b32_e32 v21, 0
                                        ; implicit-def: $vgpr6_vgpr7
	s_and_saveexec_b32 s4, s2
	s_cbranch_execz .LBB5_5
; %bb.4:                                ;   in Loop: Header=BB5_3 Depth=1
	s_mul_u64 s[16:17], s[10:11], s[8:9]
	v_mov_b32_e32 v21, v2
	s_wait_dscnt 0x0
	v_lshl_add_u64 v[6:7], s[16:17], 4, v[4:5]
	global_load_b128 v[6:9], v[6:7], off
	s_wait_loadcnt 0x0
	v_cmp_gt_f64_e64 s3, 0, v[6:7]
	v_xor_b32_e32 v10, 0x80000000, v7
	v_xor_b32_e32 v11, 0x80000000, v9
	s_wait_xcnt 0x0
	s_delay_alu instid0(VALU_DEP_2) | instskip(SKIP_1) | instid1(VALU_DEP_1)
	v_cndmask_b32_e64 v7, v7, v10, s3
	v_cmp_gt_f64_e64 s3, 0, v[8:9]
	v_cndmask_b32_e64 v9, v9, v11, s3
	s_delay_alu instid0(VALU_DEP_1)
	v_add_f64_e32 v[6:7], v[6:7], v[8:9]
.LBB5_5:                                ;   in Loop: Header=BB5_3 Depth=1
	s_or_b32 exec_lo, exec_lo, s4
	s_and_saveexec_b32 s3, vcc_lo
	s_cbranch_execz .LBB5_7
; %bb.6:                                ;   in Loop: Header=BB5_3 Depth=1
	ds_store_b32 v14, v3
	ds_store_b64 v14, v[0:1] offset:8
.LBB5_7:                                ;   in Loop: Header=BB5_3 Depth=1
	s_or_b32 exec_lo, exec_lo, s3
	ds_bpermute_b32 v12, v15, v21
	s_wait_dscnt 0x1
	ds_bpermute_b32 v10, v15, v6
	ds_bpermute_b32 v11, v15, v7
	v_mov_b64_e32 v[8:9], v[6:7]
	s_mov_b32 s5, exec_lo
	s_wait_dscnt 0x0
	s_barrier_signal -1
	s_barrier_wait -1
	v_cmpx_ne_u32_e32 0, v12
	s_cbranch_execz .LBB5_11
; %bb.8:                                ;   in Loop: Header=BB5_3 Depth=1
	v_cmp_nlt_f64_e64 s3, v[6:7], v[10:11]
	v_cmp_ne_u32_e64 s4, 0, v21
	v_mov_b64_e32 v[8:9], v[10:11]
	s_and_b32 s3, s4, s3
	s_delay_alu instid0(SALU_CYCLE_1)
	s_and_saveexec_b32 s4, s3
	s_cbranch_execz .LBB5_10
; %bb.9:                                ;   in Loop: Header=BB5_3 Depth=1
	v_cmp_eq_f64_e64 s3, v[6:7], v[10:11]
	v_dual_mov_b32 v10, v6 :: v_dual_min_i32 v12, v12, v21
	v_mov_b64_e32 v[8:9], v[6:7]
	s_delay_alu instid0(VALU_DEP_2)
	v_dual_mov_b32 v11, v7 :: v_dual_cndmask_b32 v12, v21, v12, s3
.LBB5_10:                               ;   in Loop: Header=BB5_3 Depth=1
	s_or_b32 exec_lo, exec_lo, s4
	s_delay_alu instid0(VALU_DEP_1) | instskip(NEXT) | instid1(VALU_DEP_2)
	v_dual_mov_b32 v7, v11 :: v_dual_mov_b32 v6, v10
	v_mov_b32_e32 v21, v12
.LBB5_11:                               ;   in Loop: Header=BB5_3 Depth=1
	s_or_b32 exec_lo, exec_lo, s5
	ds_bpermute_b32 v22, v17, v21
	ds_bpermute_b32 v10, v17, v6
	;; [unrolled: 1-line block ×3, first 2 shown]
	s_mov_b32 s5, exec_lo
	s_wait_dscnt 0x2
	v_cmpx_ne_u32_e32 0, v22
	s_cbranch_execz .LBB5_15
; %bb.12:                               ;   in Loop: Header=BB5_3 Depth=1
	s_wait_dscnt 0x0
	v_cmp_nlt_f64_e64 s3, v[8:9], v[10:11]
	v_cmp_ne_u32_e64 s4, 0, v21
	v_mov_b64_e32 v[12:13], v[10:11]
	s_and_b32 s3, s4, s3
	s_delay_alu instid0(SALU_CYCLE_1)
	s_and_saveexec_b32 s4, s3
	s_cbranch_execz .LBB5_14
; %bb.13:                               ;   in Loop: Header=BB5_3 Depth=1
	v_cmp_eq_f64_e64 s3, v[8:9], v[10:11]
	v_dual_mov_b32 v11, v7 :: v_dual_min_i32 v22, v22, v21
	v_mov_b64_e32 v[12:13], v[8:9]
	s_delay_alu instid0(VALU_DEP_2)
	v_dual_mov_b32 v10, v6 :: v_dual_cndmask_b32 v22, v21, v22, s3
.LBB5_14:                               ;   in Loop: Header=BB5_3 Depth=1
	s_or_b32 exec_lo, exec_lo, s4
	s_delay_alu instid0(VALU_DEP_1) | instskip(NEXT) | instid1(VALU_DEP_2)
	v_mov_b64_e32 v[8:9], v[12:13]
	v_dual_mov_b32 v7, v11 :: v_dual_mov_b32 v6, v10
	s_delay_alu instid0(VALU_DEP_3)
	v_mov_b32_e32 v21, v22
.LBB5_15:                               ;   in Loop: Header=BB5_3 Depth=1
	s_or_b32 exec_lo, exec_lo, s5
	ds_bpermute_b32 v22, v18, v21
	s_wait_dscnt 0x2
	ds_bpermute_b32 v10, v18, v6
	s_wait_dscnt 0x2
	ds_bpermute_b32 v11, v18, v7
	s_mov_b32 s5, exec_lo
	s_wait_dscnt 0x2
	v_cmpx_ne_u32_e32 0, v22
	s_cbranch_execz .LBB5_19
; %bb.16:                               ;   in Loop: Header=BB5_3 Depth=1
	s_wait_dscnt 0x0
	v_cmp_nlt_f64_e64 s3, v[8:9], v[10:11]
	v_cmp_ne_u32_e64 s4, 0, v21
	v_mov_b64_e32 v[12:13], v[10:11]
	s_and_b32 s3, s4, s3
	s_delay_alu instid0(SALU_CYCLE_1)
	s_and_saveexec_b32 s4, s3
	s_cbranch_execz .LBB5_18
; %bb.17:                               ;   in Loop: Header=BB5_3 Depth=1
	v_cmp_eq_f64_e64 s3, v[8:9], v[10:11]
	v_dual_mov_b32 v11, v7 :: v_dual_min_i32 v22, v22, v21
	v_mov_b64_e32 v[12:13], v[8:9]
	s_delay_alu instid0(VALU_DEP_2)
	v_dual_mov_b32 v10, v6 :: v_dual_cndmask_b32 v22, v21, v22, s3
.LBB5_18:                               ;   in Loop: Header=BB5_3 Depth=1
	s_or_b32 exec_lo, exec_lo, s4
	s_delay_alu instid0(VALU_DEP_1) | instskip(NEXT) | instid1(VALU_DEP_2)
	v_mov_b64_e32 v[8:9], v[12:13]
	v_dual_mov_b32 v7, v11 :: v_dual_mov_b32 v6, v10
	s_delay_alu instid0(VALU_DEP_3)
	v_mov_b32_e32 v21, v22
.LBB5_19:                               ;   in Loop: Header=BB5_3 Depth=1
	s_or_b32 exec_lo, exec_lo, s5
	ds_bpermute_b32 v22, v19, v21
	s_wait_dscnt 0x2
	ds_bpermute_b32 v10, v19, v6
	s_wait_dscnt 0x2
	ds_bpermute_b32 v11, v19, v7
	s_mov_b32 s5, exec_lo
	s_wait_dscnt 0x2
	v_cmpx_ne_u32_e32 0, v22
	s_cbranch_execz .LBB5_23
; %bb.20:                               ;   in Loop: Header=BB5_3 Depth=1
	s_wait_dscnt 0x0
	v_cmp_nlt_f64_e64 s3, v[8:9], v[10:11]
	v_cmp_ne_u32_e64 s4, 0, v21
	v_mov_b64_e32 v[12:13], v[10:11]
	s_and_b32 s3, s4, s3
	s_delay_alu instid0(SALU_CYCLE_1)
	s_and_saveexec_b32 s4, s3
	s_cbranch_execz .LBB5_22
; %bb.21:                               ;   in Loop: Header=BB5_3 Depth=1
	v_cmp_eq_f64_e64 s3, v[8:9], v[10:11]
	v_dual_mov_b32 v11, v7 :: v_dual_min_i32 v22, v22, v21
	v_mov_b64_e32 v[12:13], v[8:9]
	s_delay_alu instid0(VALU_DEP_2)
	v_dual_mov_b32 v10, v6 :: v_dual_cndmask_b32 v22, v21, v22, s3
.LBB5_22:                               ;   in Loop: Header=BB5_3 Depth=1
	s_or_b32 exec_lo, exec_lo, s4
	s_delay_alu instid0(VALU_DEP_1) | instskip(NEXT) | instid1(VALU_DEP_2)
	v_mov_b64_e32 v[8:9], v[12:13]
	v_dual_mov_b32 v7, v11 :: v_dual_mov_b32 v6, v10
	s_delay_alu instid0(VALU_DEP_3)
	v_mov_b32_e32 v21, v22
.LBB5_23:                               ;   in Loop: Header=BB5_3 Depth=1
	s_or_b32 exec_lo, exec_lo, s5
	s_wait_dscnt 0x1
	ds_bpermute_b32 v10, v20, v21
	ds_bpermute_b32 v6, v20, v6
	;; [unrolled: 1-line block ×3, first 2 shown]
	s_mov_b32 s7, exec_lo
	s_wait_dscnt 0x2
	v_cmpx_ne_u32_e32 0, v10
	s_cbranch_execz .LBB5_25
; %bb.24:                               ;   in Loop: Header=BB5_3 Depth=1
	s_wait_dscnt 0x0
	v_cmp_lt_f64_e64 s3, v[8:9], v[6:7]
	v_cmp_eq_f64_e64 s5, v[8:9], v[6:7]
	v_cmp_eq_u32_e64 s4, 0, v21
	s_or_b32 s3, s4, s3
	s_delay_alu instid0(SALU_CYCLE_1) | instskip(NEXT) | instid1(VALU_DEP_1)
	v_dual_cndmask_b32 v9, v9, v7, s3 :: v_dual_min_i32 v11, v10, v21
	v_dual_cndmask_b32 v8, v8, v6, s3 :: v_dual_cndmask_b32 v11, v21, v11, s5
	s_delay_alu instid0(VALU_DEP_1)
	v_cndmask_b32_e64 v21, v11, v10, s3
.LBB5_25:                               ;   in Loop: Header=BB5_3 Depth=1
	s_or_b32 exec_lo, exec_lo, s7
	s_and_saveexec_b32 s3, s1
	s_cbranch_execz .LBB5_27
; %bb.26:                               ;   in Loop: Header=BB5_3 Depth=1
	ds_store_b32 v16, v21
	ds_store_b64 v16, v[8:9] offset:8
.LBB5_27:                               ;   in Loop: Header=BB5_3 Depth=1
	s_or_b32 exec_lo, exec_lo, s3
	s_wait_dscnt 0x0
	v_mov_b64_e32 v[6:7], 0
	v_mov_b32_e32 v21, 0
	s_barrier_signal -1
	s_barrier_wait -1
	s_and_saveexec_b32 s3, vcc_lo
	s_cbranch_execnz .LBB5_30
; %bb.28:                               ;   in Loop: Header=BB5_3 Depth=1
	s_or_b32 exec_lo, exec_lo, s3
	s_and_saveexec_b32 s7, vcc_lo
	s_cbranch_execnz .LBB5_31
.LBB5_29:                               ;   in Loop: Header=BB5_3 Depth=1
	s_or_b32 exec_lo, exec_lo, s7
	s_and_saveexec_b32 s3, s0
	s_cbranch_execz .LBB5_2
	s_branch .LBB5_50
.LBB5_30:                               ;   in Loop: Header=BB5_3 Depth=1
	ds_load_b32 v21, v14
	ds_load_b64 v[6:7], v14 offset:8
	s_or_b32 exec_lo, exec_lo, s3
	s_and_saveexec_b32 s7, vcc_lo
	s_cbranch_execz .LBB5_29
.LBB5_31:                               ;   in Loop: Header=BB5_3 Depth=1
	s_wait_dscnt 0x1
	ds_bpermute_b32 v12, v15, v21
	s_wait_dscnt 0x1
	ds_bpermute_b32 v10, v15, v6
	ds_bpermute_b32 v11, v15, v7
	v_mov_b64_e32 v[8:9], v[6:7]
	s_mov_b32 s5, exec_lo
	s_wait_dscnt 0x2
	v_cmpx_ne_u32_e32 0, v12
	s_cbranch_execz .LBB5_35
; %bb.32:                               ;   in Loop: Header=BB5_3 Depth=1
	s_wait_dscnt 0x0
	v_cmp_nlt_f64_e64 s3, v[6:7], v[10:11]
	v_cmp_ne_u32_e64 s4, 0, v21
	v_mov_b64_e32 v[8:9], v[10:11]
	s_and_b32 s3, s4, s3
	s_delay_alu instid0(SALU_CYCLE_1)
	s_and_saveexec_b32 s4, s3
	s_cbranch_execz .LBB5_34
; %bb.33:                               ;   in Loop: Header=BB5_3 Depth=1
	v_cmp_eq_f64_e64 s3, v[6:7], v[10:11]
	v_dual_mov_b32 v10, v6 :: v_dual_min_i32 v12, v12, v21
	v_mov_b64_e32 v[8:9], v[6:7]
	s_delay_alu instid0(VALU_DEP_2)
	v_dual_mov_b32 v11, v7 :: v_dual_cndmask_b32 v12, v21, v12, s3
.LBB5_34:                               ;   in Loop: Header=BB5_3 Depth=1
	s_or_b32 exec_lo, exec_lo, s4
	s_delay_alu instid0(VALU_DEP_1) | instskip(NEXT) | instid1(VALU_DEP_2)
	v_dual_mov_b32 v7, v11 :: v_dual_mov_b32 v6, v10
	v_mov_b32_e32 v21, v12
.LBB5_35:                               ;   in Loop: Header=BB5_3 Depth=1
	s_or_b32 exec_lo, exec_lo, s5
	ds_bpermute_b32 v22, v17, v21
	s_wait_dscnt 0x2
	ds_bpermute_b32 v10, v17, v6
	s_wait_dscnt 0x2
	ds_bpermute_b32 v11, v17, v7
	s_mov_b32 s5, exec_lo
	s_wait_dscnt 0x2
	v_cmpx_ne_u32_e32 0, v22
	s_cbranch_execz .LBB5_39
; %bb.36:                               ;   in Loop: Header=BB5_3 Depth=1
	s_wait_dscnt 0x0
	v_cmp_nlt_f64_e64 s3, v[8:9], v[10:11]
	v_cmp_ne_u32_e64 s4, 0, v21
	v_mov_b64_e32 v[12:13], v[10:11]
	s_and_b32 s3, s4, s3
	s_delay_alu instid0(SALU_CYCLE_1)
	s_and_saveexec_b32 s4, s3
	s_cbranch_execz .LBB5_38
; %bb.37:                               ;   in Loop: Header=BB5_3 Depth=1
	v_cmp_eq_f64_e64 s3, v[8:9], v[10:11]
	v_dual_mov_b32 v11, v7 :: v_dual_min_i32 v22, v22, v21
	v_mov_b64_e32 v[12:13], v[8:9]
	s_delay_alu instid0(VALU_DEP_2)
	v_dual_mov_b32 v10, v6 :: v_dual_cndmask_b32 v22, v21, v22, s3
.LBB5_38:                               ;   in Loop: Header=BB5_3 Depth=1
	s_or_b32 exec_lo, exec_lo, s4
	s_delay_alu instid0(VALU_DEP_1) | instskip(NEXT) | instid1(VALU_DEP_2)
	v_mov_b64_e32 v[8:9], v[12:13]
	v_dual_mov_b32 v7, v11 :: v_dual_mov_b32 v6, v10
	s_delay_alu instid0(VALU_DEP_3)
	v_mov_b32_e32 v21, v22
.LBB5_39:                               ;   in Loop: Header=BB5_3 Depth=1
	s_or_b32 exec_lo, exec_lo, s5
	ds_bpermute_b32 v22, v18, v21
	s_wait_dscnt 0x2
	ds_bpermute_b32 v10, v18, v6
	s_wait_dscnt 0x2
	ds_bpermute_b32 v11, v18, v7
	s_mov_b32 s5, exec_lo
	s_wait_dscnt 0x2
	v_cmpx_ne_u32_e32 0, v22
	s_cbranch_execz .LBB5_43
; %bb.40:                               ;   in Loop: Header=BB5_3 Depth=1
	s_wait_dscnt 0x0
	v_cmp_nlt_f64_e64 s3, v[8:9], v[10:11]
	v_cmp_ne_u32_e64 s4, 0, v21
	v_mov_b64_e32 v[12:13], v[10:11]
	s_and_b32 s3, s4, s3
	s_delay_alu instid0(SALU_CYCLE_1)
	s_and_saveexec_b32 s4, s3
	s_cbranch_execz .LBB5_42
; %bb.41:                               ;   in Loop: Header=BB5_3 Depth=1
	v_cmp_eq_f64_e64 s3, v[8:9], v[10:11]
	v_dual_mov_b32 v11, v7 :: v_dual_min_i32 v22, v22, v21
	v_mov_b64_e32 v[12:13], v[8:9]
	s_delay_alu instid0(VALU_DEP_2)
	v_dual_mov_b32 v10, v6 :: v_dual_cndmask_b32 v22, v21, v22, s3
.LBB5_42:                               ;   in Loop: Header=BB5_3 Depth=1
	s_or_b32 exec_lo, exec_lo, s4
	s_delay_alu instid0(VALU_DEP_1) | instskip(NEXT) | instid1(VALU_DEP_2)
	v_mov_b64_e32 v[8:9], v[12:13]
	v_dual_mov_b32 v7, v11 :: v_dual_mov_b32 v6, v10
	s_delay_alu instid0(VALU_DEP_3)
	v_mov_b32_e32 v21, v22
.LBB5_43:                               ;   in Loop: Header=BB5_3 Depth=1
	;; [unrolled: 33-line block ×3, first 2 shown]
	s_or_b32 exec_lo, exec_lo, s5
	s_wait_dscnt 0x1
	ds_bpermute_b32 v10, v20, v21
	ds_bpermute_b32 v6, v20, v6
	;; [unrolled: 1-line block ×3, first 2 shown]
	s_mov_b32 s16, exec_lo
	s_wait_dscnt 0x2
	v_cmpx_ne_u32_e32 0, v10
	s_cbranch_execz .LBB5_49
; %bb.48:                               ;   in Loop: Header=BB5_3 Depth=1
	s_wait_dscnt 0x0
	v_cmp_lt_f64_e64 s3, v[8:9], v[6:7]
	v_cmp_eq_f64_e64 s5, v[8:9], v[6:7]
	v_cmp_eq_u32_e64 s4, 0, v21
	s_or_b32 s3, s4, s3
	s_delay_alu instid0(SALU_CYCLE_1) | instskip(NEXT) | instid1(VALU_DEP_1)
	v_dual_cndmask_b32 v9, v9, v7, s3 :: v_dual_min_i32 v11, v10, v21
	v_dual_cndmask_b32 v8, v8, v6, s3 :: v_dual_cndmask_b32 v11, v21, v11, s5
	s_delay_alu instid0(VALU_DEP_1)
	v_cndmask_b32_e64 v21, v11, v10, s3
.LBB5_49:                               ;   in Loop: Header=BB5_3 Depth=1
	s_or_b32 exec_lo, exec_lo, s16
	s_wait_dscnt 0x0
	s_delay_alu instid0(VALU_DEP_2)
	v_mov_b64_e32 v[6:7], v[8:9]
	s_or_b32 exec_lo, exec_lo, s7
	s_and_saveexec_b32 s3, s0
	s_cbranch_execz .LBB5_2
.LBB5_50:                               ;   in Loop: Header=BB5_3 Depth=1
	s_mov_b32 s7, s9
	s_delay_alu instid0(SALU_CYCLE_1) | instskip(NEXT) | instid1(SALU_CYCLE_1)
	s_lshl_b64 s[4:5], s[6:7], 4
	s_add_nc_u64 s[4:5], s[12:13], s[4:5]
	s_wait_dscnt 0x1
	global_store_b32 v3, v21, s[4:5]
	s_wait_dscnt 0x0
	global_store_b64 v3, v[6:7], s[4:5] offset:8
	s_branch .LBB5_2
.LBB5_51:
	s_endpgm
	.section	.rodata,"a",@progbits
	.p2align	6, 0x0
	.amdhsa_kernel _ZL32rocblas_iamax_iamin_kernel_part1ILi1024E23rocblas_fetch_amax_aminIdE19rocblas_reduce_amaxPK19rocblas_complex_numIdE21rocblas_index_value_tIdEEviiT2_liliPT3_
		.amdhsa_group_segment_fixed_size 512
		.amdhsa_private_segment_fixed_size 0
		.amdhsa_kernarg_size 56
		.amdhsa_user_sgpr_count 2
		.amdhsa_user_sgpr_dispatch_ptr 0
		.amdhsa_user_sgpr_queue_ptr 0
		.amdhsa_user_sgpr_kernarg_segment_ptr 1
		.amdhsa_user_sgpr_dispatch_id 0
		.amdhsa_user_sgpr_kernarg_preload_length 0
		.amdhsa_user_sgpr_kernarg_preload_offset 0
		.amdhsa_user_sgpr_private_segment_size 0
		.amdhsa_wavefront_size32 1
		.amdhsa_uses_dynamic_stack 0
		.amdhsa_enable_private_segment 0
		.amdhsa_system_sgpr_workgroup_id_x 1
		.amdhsa_system_sgpr_workgroup_id_y 0
		.amdhsa_system_sgpr_workgroup_id_z 1
		.amdhsa_system_sgpr_workgroup_info 0
		.amdhsa_system_vgpr_workitem_id 0
		.amdhsa_next_free_vgpr 23
		.amdhsa_next_free_sgpr 18
		.amdhsa_named_barrier_count 0
		.amdhsa_reserve_vcc 1
		.amdhsa_float_round_mode_32 0
		.amdhsa_float_round_mode_16_64 0
		.amdhsa_float_denorm_mode_32 3
		.amdhsa_float_denorm_mode_16_64 3
		.amdhsa_fp16_overflow 0
		.amdhsa_memory_ordered 1
		.amdhsa_forward_progress 1
		.amdhsa_inst_pref_size 18
		.amdhsa_round_robin_scheduling 0
		.amdhsa_exception_fp_ieee_invalid_op 0
		.amdhsa_exception_fp_denorm_src 0
		.amdhsa_exception_fp_ieee_div_zero 0
		.amdhsa_exception_fp_ieee_overflow 0
		.amdhsa_exception_fp_ieee_underflow 0
		.amdhsa_exception_fp_ieee_inexact 0
		.amdhsa_exception_int_div_zero 0
	.end_amdhsa_kernel
	.section	.text._ZL32rocblas_iamax_iamin_kernel_part1ILi1024E23rocblas_fetch_amax_aminIdE19rocblas_reduce_amaxPK19rocblas_complex_numIdE21rocblas_index_value_tIdEEviiT2_liliPT3_,"axG",@progbits,_ZL32rocblas_iamax_iamin_kernel_part1ILi1024E23rocblas_fetch_amax_aminIdE19rocblas_reduce_amaxPK19rocblas_complex_numIdE21rocblas_index_value_tIdEEviiT2_liliPT3_,comdat
.Lfunc_end5:
	.size	_ZL32rocblas_iamax_iamin_kernel_part1ILi1024E23rocblas_fetch_amax_aminIdE19rocblas_reduce_amaxPK19rocblas_complex_numIdE21rocblas_index_value_tIdEEviiT2_liliPT3_, .Lfunc_end5-_ZL32rocblas_iamax_iamin_kernel_part1ILi1024E23rocblas_fetch_amax_aminIdE19rocblas_reduce_amaxPK19rocblas_complex_numIdE21rocblas_index_value_tIdEEviiT2_liliPT3_
                                        ; -- End function
	.set _ZL32rocblas_iamax_iamin_kernel_part1ILi1024E23rocblas_fetch_amax_aminIdE19rocblas_reduce_amaxPK19rocblas_complex_numIdE21rocblas_index_value_tIdEEviiT2_liliPT3_.num_vgpr, 23
	.set _ZL32rocblas_iamax_iamin_kernel_part1ILi1024E23rocblas_fetch_amax_aminIdE19rocblas_reduce_amaxPK19rocblas_complex_numIdE21rocblas_index_value_tIdEEviiT2_liliPT3_.num_agpr, 0
	.set _ZL32rocblas_iamax_iamin_kernel_part1ILi1024E23rocblas_fetch_amax_aminIdE19rocblas_reduce_amaxPK19rocblas_complex_numIdE21rocblas_index_value_tIdEEviiT2_liliPT3_.numbered_sgpr, 18
	.set _ZL32rocblas_iamax_iamin_kernel_part1ILi1024E23rocblas_fetch_amax_aminIdE19rocblas_reduce_amaxPK19rocblas_complex_numIdE21rocblas_index_value_tIdEEviiT2_liliPT3_.num_named_barrier, 0
	.set _ZL32rocblas_iamax_iamin_kernel_part1ILi1024E23rocblas_fetch_amax_aminIdE19rocblas_reduce_amaxPK19rocblas_complex_numIdE21rocblas_index_value_tIdEEviiT2_liliPT3_.private_seg_size, 0
	.set _ZL32rocblas_iamax_iamin_kernel_part1ILi1024E23rocblas_fetch_amax_aminIdE19rocblas_reduce_amaxPK19rocblas_complex_numIdE21rocblas_index_value_tIdEEviiT2_liliPT3_.uses_vcc, 1
	.set _ZL32rocblas_iamax_iamin_kernel_part1ILi1024E23rocblas_fetch_amax_aminIdE19rocblas_reduce_amaxPK19rocblas_complex_numIdE21rocblas_index_value_tIdEEviiT2_liliPT3_.uses_flat_scratch, 0
	.set _ZL32rocblas_iamax_iamin_kernel_part1ILi1024E23rocblas_fetch_amax_aminIdE19rocblas_reduce_amaxPK19rocblas_complex_numIdE21rocblas_index_value_tIdEEviiT2_liliPT3_.has_dyn_sized_stack, 0
	.set _ZL32rocblas_iamax_iamin_kernel_part1ILi1024E23rocblas_fetch_amax_aminIdE19rocblas_reduce_amaxPK19rocblas_complex_numIdE21rocblas_index_value_tIdEEviiT2_liliPT3_.has_recursion, 0
	.set _ZL32rocblas_iamax_iamin_kernel_part1ILi1024E23rocblas_fetch_amax_aminIdE19rocblas_reduce_amaxPK19rocblas_complex_numIdE21rocblas_index_value_tIdEEviiT2_liliPT3_.has_indirect_call, 0
	.section	.AMDGPU.csdata,"",@progbits
; Kernel info:
; codeLenInByte = 2264
; TotalNumSgprs: 20
; NumVgprs: 23
; ScratchSize: 0
; MemoryBound: 0
; FloatMode: 240
; IeeeMode: 1
; LDSByteSize: 512 bytes/workgroup (compile time only)
; SGPRBlocks: 0
; VGPRBlocks: 1
; NumSGPRsForWavesPerEU: 20
; NumVGPRsForWavesPerEU: 23
; NamedBarCnt: 0
; Occupancy: 16
; WaveLimiterHint : 0
; COMPUTE_PGM_RSRC2:SCRATCH_EN: 0
; COMPUTE_PGM_RSRC2:USER_SGPR: 2
; COMPUTE_PGM_RSRC2:TRAP_HANDLER: 0
; COMPUTE_PGM_RSRC2:TGID_X_EN: 1
; COMPUTE_PGM_RSRC2:TGID_Y_EN: 0
; COMPUTE_PGM_RSRC2:TGID_Z_EN: 1
; COMPUTE_PGM_RSRC2:TIDIG_COMP_CNT: 0
	.section	.text._ZL32rocblas_iamax_iamin_kernel_part1ILi1024E23rocblas_fetch_amax_aminIfE19rocblas_reduce_amaxPKPKf21rocblas_index_value_tIfEEviiT2_liliPT3_,"axG",@progbits,_ZL32rocblas_iamax_iamin_kernel_part1ILi1024E23rocblas_fetch_amax_aminIfE19rocblas_reduce_amaxPKPKf21rocblas_index_value_tIfEEviiT2_liliPT3_,comdat
	.globl	_ZL32rocblas_iamax_iamin_kernel_part1ILi1024E23rocblas_fetch_amax_aminIfE19rocblas_reduce_amaxPKPKf21rocblas_index_value_tIfEEviiT2_liliPT3_ ; -- Begin function _ZL32rocblas_iamax_iamin_kernel_part1ILi1024E23rocblas_fetch_amax_aminIfE19rocblas_reduce_amaxPKPKf21rocblas_index_value_tIfEEviiT2_liliPT3_
	.p2align	8
	.type	_ZL32rocblas_iamax_iamin_kernel_part1ILi1024E23rocblas_fetch_amax_aminIfE19rocblas_reduce_amaxPKPKf21rocblas_index_value_tIfEEviiT2_liliPT3_,@function
_ZL32rocblas_iamax_iamin_kernel_part1ILi1024E23rocblas_fetch_amax_aminIfE19rocblas_reduce_amaxPKPKf21rocblas_index_value_tIfEEviiT2_liliPT3_: ; @_ZL32rocblas_iamax_iamin_kernel_part1ILi1024E23rocblas_fetch_amax_aminIfE19rocblas_reduce_amaxPKPKf21rocblas_index_value_tIfEEviiT2_liliPT3_
; %bb.0:
	s_load_b32 s12, s[0:1], 0x28
	s_bfe_u32 s2, ttmp6, 0x40014
	s_lshr_b32 s3, ttmp7, 16
	s_add_co_i32 s2, s2, 1
	s_bfe_u32 s5, ttmp6, 0x40008
	s_mul_i32 s4, s3, s2
	s_getreg_b32 s2, hwreg(HW_REG_IB_STS2, 6, 4)
	s_add_co_i32 s5, s5, s4
	s_cmp_eq_u32 s2, 0
	s_cselect_b32 s13, s3, s5
	s_wait_kmcnt 0x0
	s_cmp_ge_u32 s13, s12
	s_cbranch_scc1 .LBB6_47
; %bb.1:
	s_clause 0x1
	s_load_b32 s4, s[0:1], 0x18
	s_load_b64 s[14:15], s[0:1], 0x0
	s_bfe_u32 s3, ttmp6, 0x4000c
	s_and_b32 s5, ttmp6, 15
	s_add_co_i32 s3, s3, 1
	v_dual_mov_b32 v5, 0 :: v_dual_bitop2_b32 v1, 31, v0 bitop3:0x40
	s_mul_i32 s3, ttmp9, s3
	v_mbcnt_lo_u32_b32 v11, -1, 0
	s_add_co_i32 s3, s5, s3
	s_clause 0x1
	s_load_b64 s[6:7], s[0:1], 0x30
	s_load_b128 s[8:11], s[0:1], 0x8
	v_lshlrev_b32_e32 v7, 3, v1
	v_lshl_or_b32 v8, v11, 2, 64
	s_wait_kmcnt 0x0
	s_ashr_i32 s5, s4, 31
	s_cmp_eq_u32 s2, 0
	s_mov_b32 s0, s14
	s_cselect_b32 s3, ttmp9, s3
	s_ashr_i32 s1, s14, 31
	v_lshl_or_b32 v4, s3, 10, v0
	v_cmp_eq_u32_e64 s2, 0, v0
	s_delay_alu instid0(VALU_DEP_2)
	v_mul_u64_e32 v[2:3], s[4:5], v[4:5]
	v_cmp_gt_i64_e32 vcc_lo, s[0:1], v[4:5]
	v_cmp_gt_u32_e64 s1, 24, v11
	v_add_nc_u32_e32 v6, 1, v4
	v_cmp_gt_u32_e64 s0, 32, v0
	s_mul_i32 s4, s13, s15
	s_lshl_b32 s15, s15, 16
	v_cndmask_b32_e64 v4, 0, 8, s1
	v_cmp_gt_u32_e64 s1, 28, v11
	s_add_co_i32 s14, s3, s4
	s_lshl_b64 s[10:11], s[10:11], 2
	v_add_lshl_u32 v9, v4, v11, 2
	v_cndmask_b32_e64 v5, 0, 4, s1
	v_cmp_gt_u32_e64 s1, 30, v11
	s_delay_alu instid0(VALU_DEP_2) | instskip(NEXT) | instid1(VALU_DEP_2)
	v_add_lshl_u32 v10, v5, v11, 2
	v_cndmask_b32_e64 v12, 0, 2, s1
	v_cmp_ne_u32_e64 s1, 31, v11
	s_delay_alu instid0(VALU_DEP_1) | instskip(SKIP_1) | instid1(VALU_DEP_4)
	v_add_co_ci_u32_e64 v13, null, 0, v11, s1
	v_lshrrev_b32_e32 v4, 2, v0
	v_add_lshl_u32 v11, v12, v11, 2
	v_cmp_eq_u32_e64 s1, 0, v1
	s_delay_alu instid0(VALU_DEP_4) | instskip(NEXT) | instid1(VALU_DEP_4)
	v_lshlrev_b32_e32 v12, 2, v13
	v_and_b32_e32 v13, 0xf8, v4
	v_mov_b64_e32 v[4:5], 0
	s_branch .LBB6_3
.LBB6_2:                                ;   in Loop: Header=BB6_3 Depth=1
	s_wait_xcnt 0x0
	s_or_b32 exec_lo, exec_lo, s3
	s_add_co_i32 s13, s13, 0x10000
	s_add_co_i32 s14, s14, s15
	s_cmp_lt_u32 s13, s12
	s_cbranch_scc0 .LBB6_47
.LBB6_3:                                ; =>This Inner Loop Header: Depth=1
	s_wait_dscnt 0x0
	v_mov_b32_e32 v0, 0
	s_and_saveexec_b32 s4, vcc_lo
	s_cbranch_execz .LBB6_5
; %bb.4:                                ;   in Loop: Header=BB6_3 Depth=1
	v_mov_b32_e32 v0, s13
	global_load_b64 v[0:1], v0, s[8:9] scale_offset
	s_wait_loadcnt 0x0
	s_wait_xcnt 0x0
	v_add_nc_u64_e32 v[0:1], s[10:11], v[0:1]
	s_delay_alu instid0(VALU_DEP_1) | instskip(SKIP_4) | instid1(VALU_DEP_1)
	v_lshl_add_u64 v[0:1], v[2:3], 2, v[0:1]
	flat_load_b32 v0, v[0:1]
	s_wait_loadcnt_dscnt 0x0
	v_cmp_gt_f32_e64 s3, 0, v0
	s_wait_xcnt 0x0
	v_dual_cndmask_b32 v1, v0, -v0, s3 :: v_dual_mov_b32 v0, v6
.LBB6_5:                                ;   in Loop: Header=BB6_3 Depth=1
	s_or_b32 exec_lo, exec_lo, s4
	s_and_saveexec_b32 s3, s0
; %bb.6:                                ;   in Loop: Header=BB6_3 Depth=1
	ds_store_b64 v7, v[4:5]
; %bb.7:                                ;   in Loop: Header=BB6_3 Depth=1
	s_or_b32 exec_lo, exec_lo, s3
	ds_bpermute_b32 v14, v8, v0
	ds_bpermute_b32 v15, v8, v1
	s_mov_b32 s16, exec_lo
	s_wait_dscnt 0x0
	s_barrier_signal -1
	s_barrier_wait -1
	v_cmpx_ne_u32_e32 0, v14
; %bb.8:                                ;   in Loop: Header=BB6_3 Depth=1
	v_cmp_eq_u32_e64 s3, 0, v0
	v_cmp_lt_f32_e64 s4, v1, v15
	v_cmp_eq_f32_e64 s5, v1, v15
	s_or_b32 s3, s3, s4
	s_delay_alu instid0(SALU_CYCLE_1) | instskip(NEXT) | instid1(VALU_DEP_1)
	v_dual_cndmask_b32 v1, v1, v15, s3 :: v_dual_min_i32 v16, v14, v0
	v_cndmask_b32_e64 v0, v0, v16, s5
	s_delay_alu instid0(VALU_DEP_1)
	v_cndmask_b32_e64 v0, v0, v14, s3
; %bb.9:                                ;   in Loop: Header=BB6_3 Depth=1
	s_or_b32 exec_lo, exec_lo, s16
	ds_bpermute_b32 v15, v9, v0
	ds_bpermute_b32 v16, v9, v1
	v_mov_b32_e32 v14, v1
	s_mov_b32 s5, exec_lo
	s_wait_dscnt 0x1
	v_cmpx_ne_u32_e32 0, v15
	s_cbranch_execz .LBB6_13
; %bb.10:                               ;   in Loop: Header=BB6_3 Depth=1
	v_cmp_ne_u32_e64 s3, 0, v0
	s_wait_dscnt 0x0
	v_cmp_nlt_f32_e64 s4, v1, v16
	s_and_b32 s3, s3, s4
	s_delay_alu instid0(SALU_CYCLE_1)
	s_and_saveexec_b32 s4, s3
; %bb.11:                               ;   in Loop: Header=BB6_3 Depth=1
	v_min_i32_e32 v14, v15, v0
	v_cmp_eq_f32_e64 s3, v1, v16
	s_delay_alu instid0(VALU_DEP_1)
	v_dual_mov_b32 v16, v1 :: v_dual_cndmask_b32 v15, v0, v14, s3
; %bb.12:                               ;   in Loop: Header=BB6_3 Depth=1
	s_or_b32 exec_lo, exec_lo, s4
	s_delay_alu instid0(VALU_DEP_1)
	v_dual_mov_b32 v1, v16 :: v_dual_mov_b32 v0, v15
	v_mov_b32_e32 v14, v16
.LBB6_13:                               ;   in Loop: Header=BB6_3 Depth=1
	s_or_b32 exec_lo, exec_lo, s5
	ds_bpermute_b32 v15, v10, v0
	s_wait_dscnt 0x1
	ds_bpermute_b32 v16, v10, v1
	s_mov_b32 s5, exec_lo
	s_wait_dscnt 0x1
	v_cmpx_ne_u32_e32 0, v15
	s_cbranch_execz .LBB6_17
; %bb.14:                               ;   in Loop: Header=BB6_3 Depth=1
	v_cmp_ne_u32_e64 s3, 0, v0
	s_wait_dscnt 0x0
	v_cmp_nlt_f32_e64 s4, v14, v16
	v_mov_b32_e32 v17, v16
	s_and_b32 s3, s3, s4
	s_delay_alu instid0(SALU_CYCLE_1)
	s_and_saveexec_b32 s4, s3
; %bb.15:                               ;   in Loop: Header=BB6_3 Depth=1
	v_dual_mov_b32 v17, v14 :: v_dual_min_i32 v15, v15, v0
	v_cmp_eq_f32_e64 s3, v14, v16
	s_delay_alu instid0(VALU_DEP_1)
	v_dual_mov_b32 v16, v1 :: v_dual_cndmask_b32 v15, v0, v15, s3
; %bb.16:                               ;   in Loop: Header=BB6_3 Depth=1
	s_or_b32 exec_lo, exec_lo, s4
	s_delay_alu instid0(VALU_DEP_1)
	v_dual_mov_b32 v1, v16 :: v_dual_mov_b32 v0, v15
	v_mov_b32_e32 v14, v17
.LBB6_17:                               ;   in Loop: Header=BB6_3 Depth=1
	s_or_b32 exec_lo, exec_lo, s5
	ds_bpermute_b32 v15, v11, v0
	s_wait_dscnt 0x1
	ds_bpermute_b32 v16, v11, v1
	s_mov_b32 s5, exec_lo
	s_wait_dscnt 0x1
	v_cmpx_ne_u32_e32 0, v15
	s_cbranch_execz .LBB6_21
; %bb.18:                               ;   in Loop: Header=BB6_3 Depth=1
	v_cmp_ne_u32_e64 s3, 0, v0
	s_wait_dscnt 0x0
	v_cmp_nlt_f32_e64 s4, v14, v16
	v_mov_b32_e32 v17, v16
	s_and_b32 s3, s3, s4
	s_delay_alu instid0(SALU_CYCLE_1)
	s_and_saveexec_b32 s4, s3
; %bb.19:                               ;   in Loop: Header=BB6_3 Depth=1
	v_dual_mov_b32 v17, v14 :: v_dual_min_i32 v15, v15, v0
	v_cmp_eq_f32_e64 s3, v14, v16
	s_delay_alu instid0(VALU_DEP_1)
	v_dual_mov_b32 v16, v1 :: v_dual_cndmask_b32 v15, v0, v15, s3
; %bb.20:                               ;   in Loop: Header=BB6_3 Depth=1
	s_or_b32 exec_lo, exec_lo, s4
	s_delay_alu instid0(VALU_DEP_1)
	v_dual_mov_b32 v1, v16 :: v_dual_mov_b32 v0, v15
	v_mov_b32_e32 v14, v17
.LBB6_21:                               ;   in Loop: Header=BB6_3 Depth=1
	s_or_b32 exec_lo, exec_lo, s5
	ds_bpermute_b32 v15, v12, v0
	s_wait_dscnt 0x1
	ds_bpermute_b32 v16, v12, v1
	s_mov_b32 s16, exec_lo
	s_wait_dscnt 0x1
	v_cmpx_ne_u32_e32 0, v15
	s_cbranch_execz .LBB6_23
; %bb.22:                               ;   in Loop: Header=BB6_3 Depth=1
	v_cmp_eq_u32_e64 s3, 0, v0
	s_wait_dscnt 0x0
	v_cmp_lt_f32_e64 s4, v14, v16
	v_cmp_eq_f32_e64 s5, v14, v16
	s_or_b32 s3, s3, s4
	v_min_i32_e32 v17, v15, v0
	s_delay_alu instid0(VALU_DEP_1) | instskip(NEXT) | instid1(VALU_DEP_1)
	v_dual_cndmask_b32 v1, v1, v16, s3 :: v_dual_cndmask_b32 v0, v0, v17, s5
	v_cndmask_b32_e64 v0, v0, v15, s3
.LBB6_23:                               ;   in Loop: Header=BB6_3 Depth=1
	s_or_b32 exec_lo, exec_lo, s16
	s_and_saveexec_b32 s3, s1
; %bb.24:                               ;   in Loop: Header=BB6_3 Depth=1
	ds_store_b64 v13, v[0:1]
; %bb.25:                               ;   in Loop: Header=BB6_3 Depth=1
	s_or_b32 exec_lo, exec_lo, s3
	v_dual_mov_b32 v0, 0 :: v_dual_mov_b32 v1, 0
	s_wait_dscnt 0x0
	s_barrier_signal -1
	s_barrier_wait -1
	s_and_saveexec_b32 s3, s0
	s_cbranch_execnz .LBB6_28
; %bb.26:                               ;   in Loop: Header=BB6_3 Depth=1
	s_or_b32 exec_lo, exec_lo, s3
	s_and_saveexec_b32 s16, s0
	s_cbranch_execnz .LBB6_29
.LBB6_27:                               ;   in Loop: Header=BB6_3 Depth=1
	s_or_b32 exec_lo, exec_lo, s16
	s_and_saveexec_b32 s3, s2
	s_cbranch_execz .LBB6_2
	s_branch .LBB6_46
.LBB6_28:                               ;   in Loop: Header=BB6_3 Depth=1
	ds_load_b64 v[0:1], v7
	s_or_b32 exec_lo, exec_lo, s3
	s_and_saveexec_b32 s16, s0
	s_cbranch_execz .LBB6_27
.LBB6_29:                               ;   in Loop: Header=BB6_3 Depth=1
	s_wait_dscnt 0x0
	ds_bpermute_b32 v14, v8, v0
	ds_bpermute_b32 v15, v8, v1
	s_mov_b32 s17, exec_lo
	s_wait_dscnt 0x1
	v_cmpx_ne_u32_e32 0, v14
	s_cbranch_execz .LBB6_31
; %bb.30:                               ;   in Loop: Header=BB6_3 Depth=1
	v_cmp_eq_u32_e64 s3, 0, v0
	s_wait_dscnt 0x0
	v_cmp_lt_f32_e64 s4, v1, v15
	v_cmp_eq_f32_e64 s5, v1, v15
	s_or_b32 s3, s3, s4
	s_delay_alu instid0(SALU_CYCLE_1) | instskip(NEXT) | instid1(VALU_DEP_1)
	v_dual_cndmask_b32 v1, v1, v15, s3 :: v_dual_min_i32 v16, v14, v0
	v_cndmask_b32_e64 v0, v0, v16, s5
	s_delay_alu instid0(VALU_DEP_1)
	v_cndmask_b32_e64 v0, v0, v14, s3
.LBB6_31:                               ;   in Loop: Header=BB6_3 Depth=1
	s_or_b32 exec_lo, exec_lo, s17
	s_wait_dscnt 0x0
	ds_bpermute_b32 v15, v9, v0
	ds_bpermute_b32 v16, v9, v1
	v_mov_b32_e32 v14, v1
	s_mov_b32 s5, exec_lo
	s_wait_dscnt 0x1
	v_cmpx_ne_u32_e32 0, v15
	s_cbranch_execz .LBB6_35
; %bb.32:                               ;   in Loop: Header=BB6_3 Depth=1
	v_cmp_ne_u32_e64 s3, 0, v0
	s_wait_dscnt 0x0
	v_cmp_nlt_f32_e64 s4, v1, v16
	s_and_b32 s3, s3, s4
	s_delay_alu instid0(SALU_CYCLE_1)
	s_and_saveexec_b32 s4, s3
; %bb.33:                               ;   in Loop: Header=BB6_3 Depth=1
	v_min_i32_e32 v14, v15, v0
	v_cmp_eq_f32_e64 s3, v1, v16
	s_delay_alu instid0(VALU_DEP_1)
	v_dual_mov_b32 v16, v1 :: v_dual_cndmask_b32 v15, v0, v14, s3
; %bb.34:                               ;   in Loop: Header=BB6_3 Depth=1
	s_or_b32 exec_lo, exec_lo, s4
	s_delay_alu instid0(VALU_DEP_1)
	v_dual_mov_b32 v1, v16 :: v_dual_mov_b32 v0, v15
	v_mov_b32_e32 v14, v16
.LBB6_35:                               ;   in Loop: Header=BB6_3 Depth=1
	s_or_b32 exec_lo, exec_lo, s5
	ds_bpermute_b32 v15, v10, v0
	s_wait_dscnt 0x1
	ds_bpermute_b32 v16, v10, v1
	s_mov_b32 s5, exec_lo
	s_wait_dscnt 0x1
	v_cmpx_ne_u32_e32 0, v15
	s_cbranch_execz .LBB6_39
; %bb.36:                               ;   in Loop: Header=BB6_3 Depth=1
	v_cmp_ne_u32_e64 s3, 0, v0
	s_wait_dscnt 0x0
	v_cmp_nlt_f32_e64 s4, v14, v16
	v_mov_b32_e32 v17, v16
	s_and_b32 s3, s3, s4
	s_delay_alu instid0(SALU_CYCLE_1)
	s_and_saveexec_b32 s4, s3
; %bb.37:                               ;   in Loop: Header=BB6_3 Depth=1
	v_dual_mov_b32 v17, v14 :: v_dual_min_i32 v15, v15, v0
	v_cmp_eq_f32_e64 s3, v14, v16
	s_delay_alu instid0(VALU_DEP_1)
	v_dual_mov_b32 v16, v1 :: v_dual_cndmask_b32 v15, v0, v15, s3
; %bb.38:                               ;   in Loop: Header=BB6_3 Depth=1
	s_or_b32 exec_lo, exec_lo, s4
	s_delay_alu instid0(VALU_DEP_1)
	v_dual_mov_b32 v1, v16 :: v_dual_mov_b32 v0, v15
	v_mov_b32_e32 v14, v17
.LBB6_39:                               ;   in Loop: Header=BB6_3 Depth=1
	s_or_b32 exec_lo, exec_lo, s5
	ds_bpermute_b32 v15, v11, v0
	s_wait_dscnt 0x1
	ds_bpermute_b32 v16, v11, v1
	s_mov_b32 s5, exec_lo
	s_wait_dscnt 0x1
	v_cmpx_ne_u32_e32 0, v15
	s_cbranch_execz .LBB6_43
; %bb.40:                               ;   in Loop: Header=BB6_3 Depth=1
	v_cmp_ne_u32_e64 s3, 0, v0
	s_wait_dscnt 0x0
	v_cmp_nlt_f32_e64 s4, v14, v16
	v_mov_b32_e32 v17, v16
	s_and_b32 s3, s3, s4
	s_delay_alu instid0(SALU_CYCLE_1)
	s_and_saveexec_b32 s4, s3
; %bb.41:                               ;   in Loop: Header=BB6_3 Depth=1
	v_dual_mov_b32 v17, v14 :: v_dual_min_i32 v15, v15, v0
	v_cmp_eq_f32_e64 s3, v14, v16
	s_delay_alu instid0(VALU_DEP_1)
	v_dual_mov_b32 v16, v1 :: v_dual_cndmask_b32 v15, v0, v15, s3
; %bb.42:                               ;   in Loop: Header=BB6_3 Depth=1
	s_or_b32 exec_lo, exec_lo, s4
	s_delay_alu instid0(VALU_DEP_1)
	v_dual_mov_b32 v1, v16 :: v_dual_mov_b32 v0, v15
	v_mov_b32_e32 v14, v17
.LBB6_43:                               ;   in Loop: Header=BB6_3 Depth=1
	s_or_b32 exec_lo, exec_lo, s5
	ds_bpermute_b32 v15, v12, v0
	s_wait_dscnt 0x1
	ds_bpermute_b32 v16, v12, v1
	s_mov_b32 s17, exec_lo
	s_wait_dscnt 0x1
	v_cmpx_ne_u32_e32 0, v15
	s_cbranch_execz .LBB6_45
; %bb.44:                               ;   in Loop: Header=BB6_3 Depth=1
	v_cmp_eq_u32_e64 s3, 0, v0
	s_wait_dscnt 0x0
	v_cmp_lt_f32_e64 s4, v14, v16
	v_cmp_eq_f32_e64 s5, v14, v16
	s_or_b32 s3, s3, s4
	v_min_i32_e32 v17, v15, v0
	s_delay_alu instid0(VALU_DEP_1) | instskip(NEXT) | instid1(VALU_DEP_1)
	v_dual_cndmask_b32 v1, v1, v16, s3 :: v_dual_cndmask_b32 v0, v0, v17, s5
	v_cndmask_b32_e64 v0, v0, v15, s3
.LBB6_45:                               ;   in Loop: Header=BB6_3 Depth=1
	s_or_b32 exec_lo, exec_lo, s17
	s_delay_alu instid0(SALU_CYCLE_1)
	s_or_b32 exec_lo, exec_lo, s16
	s_and_saveexec_b32 s3, s2
	s_cbranch_execz .LBB6_2
.LBB6_46:                               ;   in Loop: Header=BB6_3 Depth=1
	v_mov_b32_e32 v14, s14
	s_wait_dscnt 0x0
	global_store_b64 v14, v[0:1], s[6:7] scale_offset
	s_branch .LBB6_2
.LBB6_47:
	s_endpgm
	.section	.rodata,"a",@progbits
	.p2align	6, 0x0
	.amdhsa_kernel _ZL32rocblas_iamax_iamin_kernel_part1ILi1024E23rocblas_fetch_amax_aminIfE19rocblas_reduce_amaxPKPKf21rocblas_index_value_tIfEEviiT2_liliPT3_
		.amdhsa_group_segment_fixed_size 256
		.amdhsa_private_segment_fixed_size 0
		.amdhsa_kernarg_size 56
		.amdhsa_user_sgpr_count 2
		.amdhsa_user_sgpr_dispatch_ptr 0
		.amdhsa_user_sgpr_queue_ptr 0
		.amdhsa_user_sgpr_kernarg_segment_ptr 1
		.amdhsa_user_sgpr_dispatch_id 0
		.amdhsa_user_sgpr_kernarg_preload_length 0
		.amdhsa_user_sgpr_kernarg_preload_offset 0
		.amdhsa_user_sgpr_private_segment_size 0
		.amdhsa_wavefront_size32 1
		.amdhsa_uses_dynamic_stack 0
		.amdhsa_enable_private_segment 0
		.amdhsa_system_sgpr_workgroup_id_x 1
		.amdhsa_system_sgpr_workgroup_id_y 0
		.amdhsa_system_sgpr_workgroup_id_z 1
		.amdhsa_system_sgpr_workgroup_info 0
		.amdhsa_system_vgpr_workitem_id 0
		.amdhsa_next_free_vgpr 18
		.amdhsa_next_free_sgpr 18
		.amdhsa_named_barrier_count 0
		.amdhsa_reserve_vcc 1
		.amdhsa_float_round_mode_32 0
		.amdhsa_float_round_mode_16_64 0
		.amdhsa_float_denorm_mode_32 3
		.amdhsa_float_denorm_mode_16_64 3
		.amdhsa_fp16_overflow 0
		.amdhsa_memory_ordered 1
		.amdhsa_forward_progress 1
		.amdhsa_inst_pref_size 15
		.amdhsa_round_robin_scheduling 0
		.amdhsa_exception_fp_ieee_invalid_op 0
		.amdhsa_exception_fp_denorm_src 0
		.amdhsa_exception_fp_ieee_div_zero 0
		.amdhsa_exception_fp_ieee_overflow 0
		.amdhsa_exception_fp_ieee_underflow 0
		.amdhsa_exception_fp_ieee_inexact 0
		.amdhsa_exception_int_div_zero 0
	.end_amdhsa_kernel
	.section	.text._ZL32rocblas_iamax_iamin_kernel_part1ILi1024E23rocblas_fetch_amax_aminIfE19rocblas_reduce_amaxPKPKf21rocblas_index_value_tIfEEviiT2_liliPT3_,"axG",@progbits,_ZL32rocblas_iamax_iamin_kernel_part1ILi1024E23rocblas_fetch_amax_aminIfE19rocblas_reduce_amaxPKPKf21rocblas_index_value_tIfEEviiT2_liliPT3_,comdat
.Lfunc_end6:
	.size	_ZL32rocblas_iamax_iamin_kernel_part1ILi1024E23rocblas_fetch_amax_aminIfE19rocblas_reduce_amaxPKPKf21rocblas_index_value_tIfEEviiT2_liliPT3_, .Lfunc_end6-_ZL32rocblas_iamax_iamin_kernel_part1ILi1024E23rocblas_fetch_amax_aminIfE19rocblas_reduce_amaxPKPKf21rocblas_index_value_tIfEEviiT2_liliPT3_
                                        ; -- End function
	.set _ZL32rocblas_iamax_iamin_kernel_part1ILi1024E23rocblas_fetch_amax_aminIfE19rocblas_reduce_amaxPKPKf21rocblas_index_value_tIfEEviiT2_liliPT3_.num_vgpr, 18
	.set _ZL32rocblas_iamax_iamin_kernel_part1ILi1024E23rocblas_fetch_amax_aminIfE19rocblas_reduce_amaxPKPKf21rocblas_index_value_tIfEEviiT2_liliPT3_.num_agpr, 0
	.set _ZL32rocblas_iamax_iamin_kernel_part1ILi1024E23rocblas_fetch_amax_aminIfE19rocblas_reduce_amaxPKPKf21rocblas_index_value_tIfEEviiT2_liliPT3_.numbered_sgpr, 18
	.set _ZL32rocblas_iamax_iamin_kernel_part1ILi1024E23rocblas_fetch_amax_aminIfE19rocblas_reduce_amaxPKPKf21rocblas_index_value_tIfEEviiT2_liliPT3_.num_named_barrier, 0
	.set _ZL32rocblas_iamax_iamin_kernel_part1ILi1024E23rocblas_fetch_amax_aminIfE19rocblas_reduce_amaxPKPKf21rocblas_index_value_tIfEEviiT2_liliPT3_.private_seg_size, 0
	.set _ZL32rocblas_iamax_iamin_kernel_part1ILi1024E23rocblas_fetch_amax_aminIfE19rocblas_reduce_amaxPKPKf21rocblas_index_value_tIfEEviiT2_liliPT3_.uses_vcc, 1
	.set _ZL32rocblas_iamax_iamin_kernel_part1ILi1024E23rocblas_fetch_amax_aminIfE19rocblas_reduce_amaxPKPKf21rocblas_index_value_tIfEEviiT2_liliPT3_.uses_flat_scratch, 0
	.set _ZL32rocblas_iamax_iamin_kernel_part1ILi1024E23rocblas_fetch_amax_aminIfE19rocblas_reduce_amaxPKPKf21rocblas_index_value_tIfEEviiT2_liliPT3_.has_dyn_sized_stack, 0
	.set _ZL32rocblas_iamax_iamin_kernel_part1ILi1024E23rocblas_fetch_amax_aminIfE19rocblas_reduce_amaxPKPKf21rocblas_index_value_tIfEEviiT2_liliPT3_.has_recursion, 0
	.set _ZL32rocblas_iamax_iamin_kernel_part1ILi1024E23rocblas_fetch_amax_aminIfE19rocblas_reduce_amaxPKPKf21rocblas_index_value_tIfEEviiT2_liliPT3_.has_indirect_call, 0
	.section	.AMDGPU.csdata,"",@progbits
; Kernel info:
; codeLenInByte = 1836
; TotalNumSgprs: 20
; NumVgprs: 18
; ScratchSize: 0
; MemoryBound: 0
; FloatMode: 240
; IeeeMode: 1
; LDSByteSize: 256 bytes/workgroup (compile time only)
; SGPRBlocks: 0
; VGPRBlocks: 1
; NumSGPRsForWavesPerEU: 20
; NumVGPRsForWavesPerEU: 18
; NamedBarCnt: 0
; Occupancy: 16
; WaveLimiterHint : 1
; COMPUTE_PGM_RSRC2:SCRATCH_EN: 0
; COMPUTE_PGM_RSRC2:USER_SGPR: 2
; COMPUTE_PGM_RSRC2:TRAP_HANDLER: 0
; COMPUTE_PGM_RSRC2:TGID_X_EN: 1
; COMPUTE_PGM_RSRC2:TGID_Y_EN: 0
; COMPUTE_PGM_RSRC2:TGID_Z_EN: 1
; COMPUTE_PGM_RSRC2:TIDIG_COMP_CNT: 0
	.section	.text._ZL32rocblas_iamax_iamin_kernel_part1ILi1024E23rocblas_fetch_amax_aminIdE19rocblas_reduce_amaxPKPKd21rocblas_index_value_tIdEEviiT2_liliPT3_,"axG",@progbits,_ZL32rocblas_iamax_iamin_kernel_part1ILi1024E23rocblas_fetch_amax_aminIdE19rocblas_reduce_amaxPKPKd21rocblas_index_value_tIdEEviiT2_liliPT3_,comdat
	.globl	_ZL32rocblas_iamax_iamin_kernel_part1ILi1024E23rocblas_fetch_amax_aminIdE19rocblas_reduce_amaxPKPKd21rocblas_index_value_tIdEEviiT2_liliPT3_ ; -- Begin function _ZL32rocblas_iamax_iamin_kernel_part1ILi1024E23rocblas_fetch_amax_aminIdE19rocblas_reduce_amaxPKPKd21rocblas_index_value_tIdEEviiT2_liliPT3_
	.p2align	8
	.type	_ZL32rocblas_iamax_iamin_kernel_part1ILi1024E23rocblas_fetch_amax_aminIdE19rocblas_reduce_amaxPKPKd21rocblas_index_value_tIdEEviiT2_liliPT3_,@function
_ZL32rocblas_iamax_iamin_kernel_part1ILi1024E23rocblas_fetch_amax_aminIdE19rocblas_reduce_amaxPKPKd21rocblas_index_value_tIdEEviiT2_liliPT3_: ; @_ZL32rocblas_iamax_iamin_kernel_part1ILi1024E23rocblas_fetch_amax_aminIdE19rocblas_reduce_amaxPKPKd21rocblas_index_value_tIdEEviiT2_liliPT3_
; %bb.0:
	s_load_b32 s14, s[0:1], 0x28
	s_bfe_u32 s2, ttmp6, 0x40014
	s_lshr_b32 s3, ttmp7, 16
	s_add_co_i32 s2, s2, 1
	s_bfe_u32 s5, ttmp6, 0x40008
	s_mul_i32 s4, s3, s2
	s_getreg_b32 s2, hwreg(HW_REG_IB_STS2, 6, 4)
	s_add_co_i32 s5, s5, s4
	s_cmp_eq_u32 s2, 0
	s_mov_b32 s7, 0
	s_cselect_b32 s15, s3, s5
	s_wait_kmcnt 0x0
	s_cmp_ge_u32 s15, s14
	s_cbranch_scc1 .LBB7_51
; %bb.1:
	s_clause 0x1
	s_load_b32 s4, s[0:1], 0x18
	s_load_b64 s[16:17], s[0:1], 0x0
	s_bfe_u32 s3, ttmp6, 0x4000c
	s_and_b32 s5, ttmp6, 15
	s_add_co_i32 s3, s3, 1
	v_dual_mov_b32 v3, 0 :: v_dual_bitop2_b32 v1, 31, v0 bitop3:0x40
	s_mul_i32 s3, ttmp9, s3
	v_mbcnt_lo_u32_b32 v6, -1, 0
	s_add_co_i32 s3, s5, s3
	s_clause 0x1
	s_load_b64 s[12:13], s[0:1], 0x30
	s_load_b128 s[8:11], s[0:1], 0x8
	v_lshlrev_b32_e32 v14, 4, v1
	v_lshl_or_b32 v15, v6, 2, 64
	s_wait_kmcnt 0x0
	s_ashr_i32 s5, s4, 31
	s_cmp_eq_u32 s2, 0
	s_mov_b32 s0, s16
	s_cselect_b32 s3, ttmp9, s3
	s_ashr_i32 s1, s16, 31
	v_lshl_or_b32 v2, s3, 10, v0
	v_cmp_eq_u32_e64 s2, 0, v0
	s_lshl_b32 s16, s17, 16
	v_mul_u64_e32 v[4:5], s[4:5], v[2:3]
	v_cmp_gt_i64_e32 vcc_lo, s[0:1], v[2:3]
	v_cmp_gt_u32_e64 s1, 24, v6
	v_add_nc_u32_e32 v2, 1, v2
	v_cmp_gt_u32_e64 s0, 32, v0
	s_mul_i32 s4, s15, s17
	s_lshl_b64 s[10:11], s[10:11], 3
	v_cndmask_b32_e64 v7, 0, 8, s1
	v_cmp_gt_u32_e64 s1, 28, v6
	s_add_co_i32 s6, s3, s4
	v_add_lshl_u32 v16, v7, v6, 2
	v_cndmask_b32_e64 v8, 0, 4, s1
	v_cmp_gt_u32_e64 s1, 30, v6
	s_delay_alu instid0(VALU_DEP_2) | instskip(NEXT) | instid1(VALU_DEP_2)
	v_add_lshl_u32 v17, v8, v6, 2
	v_cndmask_b32_e64 v9, 0, 2, s1
	v_cmp_ne_u32_e64 s1, 31, v6
	s_delay_alu instid0(VALU_DEP_2) | instskip(NEXT) | instid1(VALU_DEP_2)
	v_add_lshl_u32 v18, v9, v6, 2
	v_add_co_ci_u32_e64 v10, null, 0, v6, s1
	v_lshrrev_b32_e32 v7, 1, v0
	v_cmp_eq_u32_e64 s1, 0, v1
	s_delay_alu instid0(VALU_DEP_3) | instskip(NEXT) | instid1(VALU_DEP_3)
	v_lshlrev_b32_e32 v19, 2, v10
	v_and_b32_e32 v20, 0x1f0, v7
	v_mov_b64_e32 v[6:7], 0
	s_branch .LBB7_3
.LBB7_2:                                ;   in Loop: Header=BB7_3 Depth=1
	s_wait_xcnt 0x0
	s_or_b32 exec_lo, exec_lo, s3
	s_add_co_i32 s15, s15, 0x10000
	s_add_co_i32 s6, s6, s16
	s_cmp_lt_u32 s15, s14
	s_cbranch_scc0 .LBB7_51
.LBB7_3:                                ; =>This Inner Loop Header: Depth=1
	s_wait_dscnt 0x1
	v_mov_b32_e32 v21, 0
                                        ; implicit-def: $vgpr0_vgpr1
	s_and_saveexec_b32 s4, vcc_lo
	s_cbranch_execz .LBB7_5
; %bb.4:                                ;   in Loop: Header=BB7_3 Depth=1
	s_wait_dscnt 0x0
	v_dual_mov_b32 v0, s15 :: v_dual_mov_b32 v21, v2
	global_load_b64 v[0:1], v0, s[8:9] scale_offset
	s_wait_loadcnt 0x0
	s_wait_xcnt 0x0
	v_add_nc_u64_e32 v[0:1], s[10:11], v[0:1]
	s_delay_alu instid0(VALU_DEP_1)
	v_lshl_add_u64 v[0:1], v[4:5], 3, v[0:1]
	flat_load_b64 v[0:1], v[0:1]
	s_wait_loadcnt_dscnt 0x0
	v_cmp_gt_f64_e64 s3, 0, v[0:1]
	v_xor_b32_e32 v8, 0x80000000, v1
	s_wait_xcnt 0x0
	s_delay_alu instid0(VALU_DEP_1)
	v_cndmask_b32_e64 v1, v1, v8, s3
.LBB7_5:                                ;   in Loop: Header=BB7_3 Depth=1
	s_or_b32 exec_lo, exec_lo, s4
	s_and_saveexec_b32 s3, s0
	s_cbranch_execz .LBB7_7
; %bb.6:                                ;   in Loop: Header=BB7_3 Depth=1
	ds_store_b32 v14, v3
	ds_store_b64 v14, v[6:7] offset:8
.LBB7_7:                                ;   in Loop: Header=BB7_3 Depth=1
	s_or_b32 exec_lo, exec_lo, s3
	ds_bpermute_b32 v12, v15, v21
	s_wait_dscnt 0x1
	ds_bpermute_b32 v10, v15, v0
	ds_bpermute_b32 v11, v15, v1
	v_mov_b64_e32 v[8:9], v[0:1]
	s_mov_b32 s5, exec_lo
	s_wait_dscnt 0x0
	s_barrier_signal -1
	s_barrier_wait -1
	v_cmpx_ne_u32_e32 0, v12
	s_cbranch_execz .LBB7_11
; %bb.8:                                ;   in Loop: Header=BB7_3 Depth=1
	v_cmp_nlt_f64_e64 s3, v[0:1], v[10:11]
	v_cmp_ne_u32_e64 s4, 0, v21
	v_mov_b64_e32 v[8:9], v[10:11]
	s_and_b32 s3, s4, s3
	s_delay_alu instid0(SALU_CYCLE_1)
	s_and_saveexec_b32 s4, s3
	s_cbranch_execz .LBB7_10
; %bb.9:                                ;   in Loop: Header=BB7_3 Depth=1
	v_cmp_eq_f64_e64 s3, v[0:1], v[10:11]
	v_dual_mov_b32 v11, v1 :: v_dual_min_i32 v12, v12, v21
	v_mov_b64_e32 v[8:9], v[0:1]
	s_delay_alu instid0(VALU_DEP_2)
	v_dual_mov_b32 v10, v0 :: v_dual_cndmask_b32 v12, v21, v12, s3
.LBB7_10:                               ;   in Loop: Header=BB7_3 Depth=1
	s_or_b32 exec_lo, exec_lo, s4
	s_delay_alu instid0(VALU_DEP_1) | instskip(NEXT) | instid1(VALU_DEP_2)
	v_dual_mov_b32 v1, v11 :: v_dual_mov_b32 v0, v10
	v_mov_b32_e32 v21, v12
.LBB7_11:                               ;   in Loop: Header=BB7_3 Depth=1
	s_or_b32 exec_lo, exec_lo, s5
	ds_bpermute_b32 v22, v16, v21
	ds_bpermute_b32 v10, v16, v0
	;; [unrolled: 1-line block ×3, first 2 shown]
	s_mov_b32 s5, exec_lo
	s_wait_dscnt 0x2
	v_cmpx_ne_u32_e32 0, v22
	s_cbranch_execz .LBB7_15
; %bb.12:                               ;   in Loop: Header=BB7_3 Depth=1
	s_wait_dscnt 0x0
	v_cmp_nlt_f64_e64 s3, v[8:9], v[10:11]
	v_cmp_ne_u32_e64 s4, 0, v21
	v_mov_b64_e32 v[12:13], v[10:11]
	s_and_b32 s3, s4, s3
	s_delay_alu instid0(SALU_CYCLE_1)
	s_and_saveexec_b32 s4, s3
	s_cbranch_execz .LBB7_14
; %bb.13:                               ;   in Loop: Header=BB7_3 Depth=1
	v_cmp_eq_f64_e64 s3, v[8:9], v[10:11]
	v_dual_mov_b32 v10, v0 :: v_dual_min_i32 v22, v22, v21
	v_mov_b64_e32 v[12:13], v[8:9]
	v_mov_b32_e32 v11, v1
	s_delay_alu instid0(VALU_DEP_3)
	v_cndmask_b32_e64 v22, v21, v22, s3
.LBB7_14:                               ;   in Loop: Header=BB7_3 Depth=1
	s_or_b32 exec_lo, exec_lo, s4
	s_delay_alu instid0(VALU_DEP_1) | instskip(NEXT) | instid1(VALU_DEP_3)
	v_mov_b64_e32 v[8:9], v[12:13]
	v_dual_mov_b32 v1, v11 :: v_dual_mov_b32 v0, v10
	s_delay_alu instid0(VALU_DEP_3)
	v_mov_b32_e32 v21, v22
.LBB7_15:                               ;   in Loop: Header=BB7_3 Depth=1
	s_or_b32 exec_lo, exec_lo, s5
	ds_bpermute_b32 v22, v17, v21
	s_wait_dscnt 0x2
	ds_bpermute_b32 v10, v17, v0
	s_wait_dscnt 0x2
	ds_bpermute_b32 v11, v17, v1
	s_mov_b32 s5, exec_lo
	s_wait_dscnt 0x2
	v_cmpx_ne_u32_e32 0, v22
	s_cbranch_execz .LBB7_19
; %bb.16:                               ;   in Loop: Header=BB7_3 Depth=1
	s_wait_dscnt 0x0
	v_cmp_nlt_f64_e64 s3, v[8:9], v[10:11]
	v_cmp_ne_u32_e64 s4, 0, v21
	v_mov_b64_e32 v[12:13], v[10:11]
	s_and_b32 s3, s4, s3
	s_delay_alu instid0(SALU_CYCLE_1)
	s_and_saveexec_b32 s4, s3
	s_cbranch_execz .LBB7_18
; %bb.17:                               ;   in Loop: Header=BB7_3 Depth=1
	v_cmp_eq_f64_e64 s3, v[8:9], v[10:11]
	v_dual_mov_b32 v10, v0 :: v_dual_min_i32 v22, v22, v21
	v_mov_b64_e32 v[12:13], v[8:9]
	v_mov_b32_e32 v11, v1
	s_delay_alu instid0(VALU_DEP_3)
	v_cndmask_b32_e64 v22, v21, v22, s3
.LBB7_18:                               ;   in Loop: Header=BB7_3 Depth=1
	s_or_b32 exec_lo, exec_lo, s4
	s_delay_alu instid0(VALU_DEP_1) | instskip(NEXT) | instid1(VALU_DEP_3)
	v_mov_b64_e32 v[8:9], v[12:13]
	v_dual_mov_b32 v1, v11 :: v_dual_mov_b32 v0, v10
	s_delay_alu instid0(VALU_DEP_3)
	v_mov_b32_e32 v21, v22
.LBB7_19:                               ;   in Loop: Header=BB7_3 Depth=1
	s_or_b32 exec_lo, exec_lo, s5
	ds_bpermute_b32 v22, v18, v21
	s_wait_dscnt 0x2
	ds_bpermute_b32 v10, v18, v0
	s_wait_dscnt 0x2
	ds_bpermute_b32 v11, v18, v1
	s_mov_b32 s5, exec_lo
	s_wait_dscnt 0x2
	v_cmpx_ne_u32_e32 0, v22
	s_cbranch_execz .LBB7_23
; %bb.20:                               ;   in Loop: Header=BB7_3 Depth=1
	s_wait_dscnt 0x0
	v_cmp_nlt_f64_e64 s3, v[8:9], v[10:11]
	v_cmp_ne_u32_e64 s4, 0, v21
	v_mov_b64_e32 v[12:13], v[10:11]
	s_and_b32 s3, s4, s3
	s_delay_alu instid0(SALU_CYCLE_1)
	s_and_saveexec_b32 s4, s3
	s_cbranch_execz .LBB7_22
; %bb.21:                               ;   in Loop: Header=BB7_3 Depth=1
	v_cmp_eq_f64_e64 s3, v[8:9], v[10:11]
	v_dual_mov_b32 v10, v0 :: v_dual_min_i32 v22, v22, v21
	v_mov_b64_e32 v[12:13], v[8:9]
	v_mov_b32_e32 v11, v1
	s_delay_alu instid0(VALU_DEP_3)
	v_cndmask_b32_e64 v22, v21, v22, s3
.LBB7_22:                               ;   in Loop: Header=BB7_3 Depth=1
	s_or_b32 exec_lo, exec_lo, s4
	s_delay_alu instid0(VALU_DEP_1) | instskip(NEXT) | instid1(VALU_DEP_3)
	v_mov_b64_e32 v[8:9], v[12:13]
	v_dual_mov_b32 v1, v11 :: v_dual_mov_b32 v0, v10
	s_delay_alu instid0(VALU_DEP_3)
	v_mov_b32_e32 v21, v22
.LBB7_23:                               ;   in Loop: Header=BB7_3 Depth=1
	s_or_b32 exec_lo, exec_lo, s5
	s_wait_dscnt 0x1
	ds_bpermute_b32 v10, v19, v21
	ds_bpermute_b32 v0, v19, v0
	;; [unrolled: 1-line block ×3, first 2 shown]
	s_mov_b32 s17, exec_lo
	s_wait_dscnt 0x2
	v_cmpx_ne_u32_e32 0, v10
	s_cbranch_execz .LBB7_25
; %bb.24:                               ;   in Loop: Header=BB7_3 Depth=1
	s_wait_dscnt 0x0
	v_cmp_lt_f64_e64 s3, v[8:9], v[0:1]
	v_cmp_eq_f64_e64 s5, v[8:9], v[0:1]
	v_cmp_eq_u32_e64 s4, 0, v21
	s_or_b32 s3, s4, s3
	s_delay_alu instid0(SALU_CYCLE_1) | instskip(SKIP_1) | instid1(VALU_DEP_2)
	v_dual_cndmask_b32 v8, v8, v0, s3 :: v_dual_min_i32 v11, v10, v21
	v_cndmask_b32_e64 v9, v9, v1, s3
	v_cndmask_b32_e64 v11, v21, v11, s5
	s_delay_alu instid0(VALU_DEP_1)
	v_cndmask_b32_e64 v21, v11, v10, s3
.LBB7_25:                               ;   in Loop: Header=BB7_3 Depth=1
	s_or_b32 exec_lo, exec_lo, s17
	s_and_saveexec_b32 s3, s1
	s_cbranch_execz .LBB7_27
; %bb.26:                               ;   in Loop: Header=BB7_3 Depth=1
	ds_store_b32 v20, v21
	ds_store_b64 v20, v[8:9] offset:8
.LBB7_27:                               ;   in Loop: Header=BB7_3 Depth=1
	s_or_b32 exec_lo, exec_lo, s3
	s_wait_dscnt 0x0
	v_mov_b64_e32 v[0:1], 0
	v_mov_b32_e32 v21, 0
	s_barrier_signal -1
	s_barrier_wait -1
	s_and_saveexec_b32 s3, s0
	s_cbranch_execnz .LBB7_30
; %bb.28:                               ;   in Loop: Header=BB7_3 Depth=1
	s_or_b32 exec_lo, exec_lo, s3
	s_and_saveexec_b32 s17, s0
	s_cbranch_execnz .LBB7_31
.LBB7_29:                               ;   in Loop: Header=BB7_3 Depth=1
	s_or_b32 exec_lo, exec_lo, s17
	s_and_saveexec_b32 s3, s2
	s_cbranch_execz .LBB7_2
	s_branch .LBB7_50
.LBB7_30:                               ;   in Loop: Header=BB7_3 Depth=1
	ds_load_b32 v21, v14
	ds_load_b64 v[0:1], v14 offset:8
	s_or_b32 exec_lo, exec_lo, s3
	s_and_saveexec_b32 s17, s0
	s_cbranch_execz .LBB7_29
.LBB7_31:                               ;   in Loop: Header=BB7_3 Depth=1
	s_wait_dscnt 0x1
	ds_bpermute_b32 v12, v15, v21
	s_wait_dscnt 0x1
	ds_bpermute_b32 v10, v15, v0
	ds_bpermute_b32 v11, v15, v1
	v_mov_b64_e32 v[8:9], v[0:1]
	s_mov_b32 s5, exec_lo
	s_wait_dscnt 0x2
	v_cmpx_ne_u32_e32 0, v12
	s_cbranch_execz .LBB7_35
; %bb.32:                               ;   in Loop: Header=BB7_3 Depth=1
	s_wait_dscnt 0x0
	v_cmp_nlt_f64_e64 s3, v[0:1], v[10:11]
	v_cmp_ne_u32_e64 s4, 0, v21
	v_mov_b64_e32 v[8:9], v[10:11]
	s_and_b32 s3, s4, s3
	s_delay_alu instid0(SALU_CYCLE_1)
	s_and_saveexec_b32 s4, s3
	s_cbranch_execz .LBB7_34
; %bb.33:                               ;   in Loop: Header=BB7_3 Depth=1
	v_cmp_eq_f64_e64 s3, v[0:1], v[10:11]
	v_dual_mov_b32 v11, v1 :: v_dual_min_i32 v12, v12, v21
	v_mov_b64_e32 v[8:9], v[0:1]
	s_delay_alu instid0(VALU_DEP_2)
	v_dual_mov_b32 v10, v0 :: v_dual_cndmask_b32 v12, v21, v12, s3
.LBB7_34:                               ;   in Loop: Header=BB7_3 Depth=1
	s_or_b32 exec_lo, exec_lo, s4
	s_delay_alu instid0(VALU_DEP_1) | instskip(NEXT) | instid1(VALU_DEP_2)
	v_dual_mov_b32 v1, v11 :: v_dual_mov_b32 v0, v10
	v_mov_b32_e32 v21, v12
.LBB7_35:                               ;   in Loop: Header=BB7_3 Depth=1
	s_or_b32 exec_lo, exec_lo, s5
	ds_bpermute_b32 v22, v16, v21
	s_wait_dscnt 0x2
	ds_bpermute_b32 v10, v16, v0
	s_wait_dscnt 0x2
	ds_bpermute_b32 v11, v16, v1
	s_mov_b32 s5, exec_lo
	s_wait_dscnt 0x2
	v_cmpx_ne_u32_e32 0, v22
	s_cbranch_execz .LBB7_39
; %bb.36:                               ;   in Loop: Header=BB7_3 Depth=1
	s_wait_dscnt 0x0
	v_cmp_nlt_f64_e64 s3, v[8:9], v[10:11]
	v_cmp_ne_u32_e64 s4, 0, v21
	v_mov_b64_e32 v[12:13], v[10:11]
	s_and_b32 s3, s4, s3
	s_delay_alu instid0(SALU_CYCLE_1)
	s_and_saveexec_b32 s4, s3
	s_cbranch_execz .LBB7_38
; %bb.37:                               ;   in Loop: Header=BB7_3 Depth=1
	v_cmp_eq_f64_e64 s3, v[8:9], v[10:11]
	v_dual_mov_b32 v10, v0 :: v_dual_min_i32 v22, v22, v21
	v_mov_b64_e32 v[12:13], v[8:9]
	v_mov_b32_e32 v11, v1
	s_delay_alu instid0(VALU_DEP_3)
	v_cndmask_b32_e64 v22, v21, v22, s3
.LBB7_38:                               ;   in Loop: Header=BB7_3 Depth=1
	s_or_b32 exec_lo, exec_lo, s4
	s_delay_alu instid0(VALU_DEP_1) | instskip(NEXT) | instid1(VALU_DEP_3)
	v_mov_b64_e32 v[8:9], v[12:13]
	v_dual_mov_b32 v1, v11 :: v_dual_mov_b32 v0, v10
	s_delay_alu instid0(VALU_DEP_3)
	v_mov_b32_e32 v21, v22
.LBB7_39:                               ;   in Loop: Header=BB7_3 Depth=1
	s_or_b32 exec_lo, exec_lo, s5
	ds_bpermute_b32 v22, v17, v21
	s_wait_dscnt 0x2
	ds_bpermute_b32 v10, v17, v0
	s_wait_dscnt 0x2
	ds_bpermute_b32 v11, v17, v1
	s_mov_b32 s5, exec_lo
	s_wait_dscnt 0x2
	v_cmpx_ne_u32_e32 0, v22
	s_cbranch_execz .LBB7_43
; %bb.40:                               ;   in Loop: Header=BB7_3 Depth=1
	s_wait_dscnt 0x0
	v_cmp_nlt_f64_e64 s3, v[8:9], v[10:11]
	v_cmp_ne_u32_e64 s4, 0, v21
	v_mov_b64_e32 v[12:13], v[10:11]
	s_and_b32 s3, s4, s3
	s_delay_alu instid0(SALU_CYCLE_1)
	s_and_saveexec_b32 s4, s3
	s_cbranch_execz .LBB7_42
; %bb.41:                               ;   in Loop: Header=BB7_3 Depth=1
	v_cmp_eq_f64_e64 s3, v[8:9], v[10:11]
	v_dual_mov_b32 v10, v0 :: v_dual_min_i32 v22, v22, v21
	v_mov_b64_e32 v[12:13], v[8:9]
	v_mov_b32_e32 v11, v1
	s_delay_alu instid0(VALU_DEP_3)
	v_cndmask_b32_e64 v22, v21, v22, s3
.LBB7_42:                               ;   in Loop: Header=BB7_3 Depth=1
	s_or_b32 exec_lo, exec_lo, s4
	s_delay_alu instid0(VALU_DEP_1) | instskip(NEXT) | instid1(VALU_DEP_3)
	v_mov_b64_e32 v[8:9], v[12:13]
	v_dual_mov_b32 v1, v11 :: v_dual_mov_b32 v0, v10
	s_delay_alu instid0(VALU_DEP_3)
	v_mov_b32_e32 v21, v22
.LBB7_43:                               ;   in Loop: Header=BB7_3 Depth=1
	;; [unrolled: 34-line block ×3, first 2 shown]
	s_or_b32 exec_lo, exec_lo, s5
	s_wait_dscnt 0x1
	ds_bpermute_b32 v10, v19, v21
	ds_bpermute_b32 v0, v19, v0
	;; [unrolled: 1-line block ×3, first 2 shown]
	s_mov_b32 s18, exec_lo
	s_wait_dscnt 0x2
	v_cmpx_ne_u32_e32 0, v10
	s_cbranch_execz .LBB7_49
; %bb.48:                               ;   in Loop: Header=BB7_3 Depth=1
	s_wait_dscnt 0x0
	v_cmp_lt_f64_e64 s3, v[8:9], v[0:1]
	v_cmp_eq_f64_e64 s5, v[8:9], v[0:1]
	v_cmp_eq_u32_e64 s4, 0, v21
	s_or_b32 s3, s4, s3
	s_delay_alu instid0(SALU_CYCLE_1) | instskip(SKIP_1) | instid1(VALU_DEP_2)
	v_dual_cndmask_b32 v8, v8, v0, s3 :: v_dual_min_i32 v11, v10, v21
	v_cndmask_b32_e64 v9, v9, v1, s3
	v_cndmask_b32_e64 v11, v21, v11, s5
	s_delay_alu instid0(VALU_DEP_1)
	v_cndmask_b32_e64 v21, v11, v10, s3
.LBB7_49:                               ;   in Loop: Header=BB7_3 Depth=1
	s_or_b32 exec_lo, exec_lo, s18
	s_wait_dscnt 0x0
	v_mov_b64_e32 v[0:1], v[8:9]
	s_or_b32 exec_lo, exec_lo, s17
	s_and_saveexec_b32 s3, s2
	s_cbranch_execz .LBB7_2
.LBB7_50:                               ;   in Loop: Header=BB7_3 Depth=1
	s_lshl_b64 s[4:5], s[6:7], 4
	s_delay_alu instid0(SALU_CYCLE_1)
	s_add_nc_u64 s[4:5], s[12:13], s[4:5]
	s_wait_dscnt 0x1
	global_store_b32 v3, v21, s[4:5]
	s_wait_dscnt 0x0
	global_store_b64 v3, v[0:1], s[4:5] offset:8
	s_branch .LBB7_2
.LBB7_51:
	s_endpgm
	.section	.rodata,"a",@progbits
	.p2align	6, 0x0
	.amdhsa_kernel _ZL32rocblas_iamax_iamin_kernel_part1ILi1024E23rocblas_fetch_amax_aminIdE19rocblas_reduce_amaxPKPKd21rocblas_index_value_tIdEEviiT2_liliPT3_
		.amdhsa_group_segment_fixed_size 512
		.amdhsa_private_segment_fixed_size 0
		.amdhsa_kernarg_size 56
		.amdhsa_user_sgpr_count 2
		.amdhsa_user_sgpr_dispatch_ptr 0
		.amdhsa_user_sgpr_queue_ptr 0
		.amdhsa_user_sgpr_kernarg_segment_ptr 1
		.amdhsa_user_sgpr_dispatch_id 0
		.amdhsa_user_sgpr_kernarg_preload_length 0
		.amdhsa_user_sgpr_kernarg_preload_offset 0
		.amdhsa_user_sgpr_private_segment_size 0
		.amdhsa_wavefront_size32 1
		.amdhsa_uses_dynamic_stack 0
		.amdhsa_enable_private_segment 0
		.amdhsa_system_sgpr_workgroup_id_x 1
		.amdhsa_system_sgpr_workgroup_id_y 0
		.amdhsa_system_sgpr_workgroup_id_z 1
		.amdhsa_system_sgpr_workgroup_info 0
		.amdhsa_system_vgpr_workitem_id 0
		.amdhsa_next_free_vgpr 23
		.amdhsa_next_free_sgpr 19
		.amdhsa_named_barrier_count 0
		.amdhsa_reserve_vcc 1
		.amdhsa_float_round_mode_32 0
		.amdhsa_float_round_mode_16_64 0
		.amdhsa_float_denorm_mode_32 3
		.amdhsa_float_denorm_mode_16_64 3
		.amdhsa_fp16_overflow 0
		.amdhsa_memory_ordered 1
		.amdhsa_forward_progress 1
		.amdhsa_inst_pref_size 18
		.amdhsa_round_robin_scheduling 0
		.amdhsa_exception_fp_ieee_invalid_op 0
		.amdhsa_exception_fp_denorm_src 0
		.amdhsa_exception_fp_ieee_div_zero 0
		.amdhsa_exception_fp_ieee_overflow 0
		.amdhsa_exception_fp_ieee_underflow 0
		.amdhsa_exception_fp_ieee_inexact 0
		.amdhsa_exception_int_div_zero 0
	.end_amdhsa_kernel
	.section	.text._ZL32rocblas_iamax_iamin_kernel_part1ILi1024E23rocblas_fetch_amax_aminIdE19rocblas_reduce_amaxPKPKd21rocblas_index_value_tIdEEviiT2_liliPT3_,"axG",@progbits,_ZL32rocblas_iamax_iamin_kernel_part1ILi1024E23rocblas_fetch_amax_aminIdE19rocblas_reduce_amaxPKPKd21rocblas_index_value_tIdEEviiT2_liliPT3_,comdat
.Lfunc_end7:
	.size	_ZL32rocblas_iamax_iamin_kernel_part1ILi1024E23rocblas_fetch_amax_aminIdE19rocblas_reduce_amaxPKPKd21rocblas_index_value_tIdEEviiT2_liliPT3_, .Lfunc_end7-_ZL32rocblas_iamax_iamin_kernel_part1ILi1024E23rocblas_fetch_amax_aminIdE19rocblas_reduce_amaxPKPKd21rocblas_index_value_tIdEEviiT2_liliPT3_
                                        ; -- End function
	.set _ZL32rocblas_iamax_iamin_kernel_part1ILi1024E23rocblas_fetch_amax_aminIdE19rocblas_reduce_amaxPKPKd21rocblas_index_value_tIdEEviiT2_liliPT3_.num_vgpr, 23
	.set _ZL32rocblas_iamax_iamin_kernel_part1ILi1024E23rocblas_fetch_amax_aminIdE19rocblas_reduce_amaxPKPKd21rocblas_index_value_tIdEEviiT2_liliPT3_.num_agpr, 0
	.set _ZL32rocblas_iamax_iamin_kernel_part1ILi1024E23rocblas_fetch_amax_aminIdE19rocblas_reduce_amaxPKPKd21rocblas_index_value_tIdEEviiT2_liliPT3_.numbered_sgpr, 19
	.set _ZL32rocblas_iamax_iamin_kernel_part1ILi1024E23rocblas_fetch_amax_aminIdE19rocblas_reduce_amaxPKPKd21rocblas_index_value_tIdEEviiT2_liliPT3_.num_named_barrier, 0
	.set _ZL32rocblas_iamax_iamin_kernel_part1ILi1024E23rocblas_fetch_amax_aminIdE19rocblas_reduce_amaxPKPKd21rocblas_index_value_tIdEEviiT2_liliPT3_.private_seg_size, 0
	.set _ZL32rocblas_iamax_iamin_kernel_part1ILi1024E23rocblas_fetch_amax_aminIdE19rocblas_reduce_amaxPKPKd21rocblas_index_value_tIdEEviiT2_liliPT3_.uses_vcc, 1
	.set _ZL32rocblas_iamax_iamin_kernel_part1ILi1024E23rocblas_fetch_amax_aminIdE19rocblas_reduce_amaxPKPKd21rocblas_index_value_tIdEEviiT2_liliPT3_.uses_flat_scratch, 0
	.set _ZL32rocblas_iamax_iamin_kernel_part1ILi1024E23rocblas_fetch_amax_aminIdE19rocblas_reduce_amaxPKPKd21rocblas_index_value_tIdEEviiT2_liliPT3_.has_dyn_sized_stack, 0
	.set _ZL32rocblas_iamax_iamin_kernel_part1ILi1024E23rocblas_fetch_amax_aminIdE19rocblas_reduce_amaxPKPKd21rocblas_index_value_tIdEEviiT2_liliPT3_.has_recursion, 0
	.set _ZL32rocblas_iamax_iamin_kernel_part1ILi1024E23rocblas_fetch_amax_aminIdE19rocblas_reduce_amaxPKPKd21rocblas_index_value_tIdEEviiT2_liliPT3_.has_indirect_call, 0
	.section	.AMDGPU.csdata,"",@progbits
; Kernel info:
; codeLenInByte = 2232
; TotalNumSgprs: 21
; NumVgprs: 23
; ScratchSize: 0
; MemoryBound: 0
; FloatMode: 240
; IeeeMode: 1
; LDSByteSize: 512 bytes/workgroup (compile time only)
; SGPRBlocks: 0
; VGPRBlocks: 1
; NumSGPRsForWavesPerEU: 21
; NumVGPRsForWavesPerEU: 23
; NamedBarCnt: 0
; Occupancy: 16
; WaveLimiterHint : 1
; COMPUTE_PGM_RSRC2:SCRATCH_EN: 0
; COMPUTE_PGM_RSRC2:USER_SGPR: 2
; COMPUTE_PGM_RSRC2:TRAP_HANDLER: 0
; COMPUTE_PGM_RSRC2:TGID_X_EN: 1
; COMPUTE_PGM_RSRC2:TGID_Y_EN: 0
; COMPUTE_PGM_RSRC2:TGID_Z_EN: 1
; COMPUTE_PGM_RSRC2:TIDIG_COMP_CNT: 0
	.section	.text._ZL32rocblas_iamax_iamin_kernel_part1ILi1024E23rocblas_fetch_amax_aminIfE19rocblas_reduce_amaxPKPK19rocblas_complex_numIfE21rocblas_index_value_tIfEEviiT2_liliPT3_,"axG",@progbits,_ZL32rocblas_iamax_iamin_kernel_part1ILi1024E23rocblas_fetch_amax_aminIfE19rocblas_reduce_amaxPKPK19rocblas_complex_numIfE21rocblas_index_value_tIfEEviiT2_liliPT3_,comdat
	.globl	_ZL32rocblas_iamax_iamin_kernel_part1ILi1024E23rocblas_fetch_amax_aminIfE19rocblas_reduce_amaxPKPK19rocblas_complex_numIfE21rocblas_index_value_tIfEEviiT2_liliPT3_ ; -- Begin function _ZL32rocblas_iamax_iamin_kernel_part1ILi1024E23rocblas_fetch_amax_aminIfE19rocblas_reduce_amaxPKPK19rocblas_complex_numIfE21rocblas_index_value_tIfEEviiT2_liliPT3_
	.p2align	8
	.type	_ZL32rocblas_iamax_iamin_kernel_part1ILi1024E23rocblas_fetch_amax_aminIfE19rocblas_reduce_amaxPKPK19rocblas_complex_numIfE21rocblas_index_value_tIfEEviiT2_liliPT3_,@function
_ZL32rocblas_iamax_iamin_kernel_part1ILi1024E23rocblas_fetch_amax_aminIfE19rocblas_reduce_amaxPKPK19rocblas_complex_numIfE21rocblas_index_value_tIfEEviiT2_liliPT3_: ; @_ZL32rocblas_iamax_iamin_kernel_part1ILi1024E23rocblas_fetch_amax_aminIfE19rocblas_reduce_amaxPKPK19rocblas_complex_numIfE21rocblas_index_value_tIfEEviiT2_liliPT3_
; %bb.0:
	s_load_b32 s12, s[0:1], 0x28
	s_bfe_u32 s2, ttmp6, 0x40014
	s_lshr_b32 s3, ttmp7, 16
	s_add_co_i32 s2, s2, 1
	s_bfe_u32 s5, ttmp6, 0x40008
	s_mul_i32 s4, s3, s2
	s_getreg_b32 s2, hwreg(HW_REG_IB_STS2, 6, 4)
	s_add_co_i32 s5, s5, s4
	s_cmp_eq_u32 s2, 0
	s_cselect_b32 s13, s3, s5
	s_wait_kmcnt 0x0
	s_cmp_ge_u32 s13, s12
	s_cbranch_scc1 .LBB8_47
; %bb.1:
	s_clause 0x1
	s_load_b32 s4, s[0:1], 0x18
	s_load_b64 s[14:15], s[0:1], 0x0
	s_bfe_u32 s3, ttmp6, 0x4000c
	s_and_b32 s5, ttmp6, 15
	s_add_co_i32 s3, s3, 1
	v_dual_mov_b32 v5, 0 :: v_dual_bitop2_b32 v1, 31, v0 bitop3:0x40
	s_mul_i32 s3, ttmp9, s3
	v_mbcnt_lo_u32_b32 v11, -1, 0
	s_add_co_i32 s3, s5, s3
	s_clause 0x1
	s_load_b64 s[6:7], s[0:1], 0x30
	s_load_b128 s[8:11], s[0:1], 0x8
	v_lshlrev_b32_e32 v7, 3, v1
	v_lshl_or_b32 v8, v11, 2, 64
	s_wait_kmcnt 0x0
	s_ashr_i32 s5, s4, 31
	s_cmp_eq_u32 s2, 0
	s_mov_b32 s0, s14
	s_cselect_b32 s3, ttmp9, s3
	s_ashr_i32 s1, s14, 31
	v_lshl_or_b32 v4, s3, 10, v0
	v_cmp_eq_u32_e64 s2, 0, v0
	s_delay_alu instid0(VALU_DEP_2)
	v_mul_u64_e32 v[2:3], s[4:5], v[4:5]
	v_cmp_gt_i64_e32 vcc_lo, s[0:1], v[4:5]
	v_cmp_gt_u32_e64 s1, 24, v11
	v_add_nc_u32_e32 v6, 1, v4
	v_cmp_gt_u32_e64 s0, 32, v0
	s_mul_i32 s4, s13, s15
	s_lshl_b32 s15, s15, 16
	v_cndmask_b32_e64 v4, 0, 8, s1
	v_cmp_gt_u32_e64 s1, 28, v11
	s_add_co_i32 s14, s3, s4
	s_lshl_b64 s[10:11], s[10:11], 3
	v_add_lshl_u32 v9, v4, v11, 2
	v_cndmask_b32_e64 v5, 0, 4, s1
	v_cmp_gt_u32_e64 s1, 30, v11
	s_delay_alu instid0(VALU_DEP_2) | instskip(NEXT) | instid1(VALU_DEP_2)
	v_add_lshl_u32 v10, v5, v11, 2
	v_cndmask_b32_e64 v12, 0, 2, s1
	v_cmp_ne_u32_e64 s1, 31, v11
	s_delay_alu instid0(VALU_DEP_1) | instskip(SKIP_1) | instid1(VALU_DEP_4)
	v_add_co_ci_u32_e64 v13, null, 0, v11, s1
	v_lshrrev_b32_e32 v4, 2, v0
	v_add_lshl_u32 v11, v12, v11, 2
	v_cmp_eq_u32_e64 s1, 0, v1
	s_delay_alu instid0(VALU_DEP_4) | instskip(NEXT) | instid1(VALU_DEP_4)
	v_lshlrev_b32_e32 v12, 2, v13
	v_and_b32_e32 v13, 0xf8, v4
	v_mov_b64_e32 v[4:5], 0
	s_branch .LBB8_3
.LBB8_2:                                ;   in Loop: Header=BB8_3 Depth=1
	s_wait_xcnt 0x0
	s_or_b32 exec_lo, exec_lo, s3
	s_add_co_i32 s13, s13, 0x10000
	s_add_co_i32 s14, s14, s15
	s_cmp_lt_u32 s13, s12
	s_cbranch_scc0 .LBB8_47
.LBB8_3:                                ; =>This Inner Loop Header: Depth=1
	s_wait_dscnt 0x0
	v_mov_b32_e32 v0, 0
	s_and_saveexec_b32 s4, vcc_lo
	s_cbranch_execz .LBB8_5
; %bb.4:                                ;   in Loop: Header=BB8_3 Depth=1
	v_mov_b32_e32 v0, s13
	global_load_b64 v[0:1], v0, s[8:9] scale_offset
	s_wait_loadcnt 0x0
	s_wait_xcnt 0x0
	v_add_nc_u64_e32 v[0:1], s[10:11], v[0:1]
	s_delay_alu instid0(VALU_DEP_1) | instskip(SKIP_4) | instid1(VALU_DEP_1)
	v_lshl_add_u64 v[0:1], v[2:3], 3, v[0:1]
	flat_load_b64 v[0:1], v[0:1]
	s_wait_loadcnt_dscnt 0x0
	v_cmp_gt_f32_e64 s3, 0, v1
	s_wait_xcnt 0x0
	v_cndmask_b32_e64 v1, v1, -v1, s3
	v_cmp_gt_f32_e64 s3, 0, v0
	s_delay_alu instid0(VALU_DEP_1) | instskip(NEXT) | instid1(VALU_DEP_1)
	v_cndmask_b32_e64 v0, v0, -v0, s3
	v_dual_add_f32 v1, v0, v1 :: v_dual_mov_b32 v0, v6
.LBB8_5:                                ;   in Loop: Header=BB8_3 Depth=1
	s_or_b32 exec_lo, exec_lo, s4
	s_and_saveexec_b32 s3, s0
; %bb.6:                                ;   in Loop: Header=BB8_3 Depth=1
	ds_store_b64 v7, v[4:5]
; %bb.7:                                ;   in Loop: Header=BB8_3 Depth=1
	s_or_b32 exec_lo, exec_lo, s3
	ds_bpermute_b32 v14, v8, v0
	ds_bpermute_b32 v15, v8, v1
	s_mov_b32 s16, exec_lo
	s_wait_dscnt 0x0
	s_barrier_signal -1
	s_barrier_wait -1
	v_cmpx_ne_u32_e32 0, v14
; %bb.8:                                ;   in Loop: Header=BB8_3 Depth=1
	v_cmp_eq_u32_e64 s3, 0, v0
	v_cmp_lt_f32_e64 s4, v1, v15
	v_cmp_eq_f32_e64 s5, v1, v15
	s_or_b32 s3, s3, s4
	s_delay_alu instid0(SALU_CYCLE_1) | instskip(NEXT) | instid1(VALU_DEP_1)
	v_dual_cndmask_b32 v1, v1, v15, s3 :: v_dual_min_i32 v16, v14, v0
	v_cndmask_b32_e64 v0, v0, v16, s5
	s_delay_alu instid0(VALU_DEP_1)
	v_cndmask_b32_e64 v0, v0, v14, s3
; %bb.9:                                ;   in Loop: Header=BB8_3 Depth=1
	s_or_b32 exec_lo, exec_lo, s16
	ds_bpermute_b32 v15, v9, v0
	ds_bpermute_b32 v16, v9, v1
	v_mov_b32_e32 v14, v1
	s_mov_b32 s5, exec_lo
	s_wait_dscnt 0x1
	v_cmpx_ne_u32_e32 0, v15
	s_cbranch_execz .LBB8_13
; %bb.10:                               ;   in Loop: Header=BB8_3 Depth=1
	v_cmp_ne_u32_e64 s3, 0, v0
	s_wait_dscnt 0x0
	v_cmp_nlt_f32_e64 s4, v1, v16
	s_and_b32 s3, s3, s4
	s_delay_alu instid0(SALU_CYCLE_1)
	s_and_saveexec_b32 s4, s3
; %bb.11:                               ;   in Loop: Header=BB8_3 Depth=1
	v_min_i32_e32 v14, v15, v0
	v_cmp_eq_f32_e64 s3, v1, v16
	s_delay_alu instid0(VALU_DEP_1)
	v_dual_mov_b32 v16, v1 :: v_dual_cndmask_b32 v15, v0, v14, s3
; %bb.12:                               ;   in Loop: Header=BB8_3 Depth=1
	s_or_b32 exec_lo, exec_lo, s4
	s_delay_alu instid0(VALU_DEP_1)
	v_dual_mov_b32 v1, v16 :: v_dual_mov_b32 v0, v15
	v_mov_b32_e32 v14, v16
.LBB8_13:                               ;   in Loop: Header=BB8_3 Depth=1
	s_or_b32 exec_lo, exec_lo, s5
	ds_bpermute_b32 v15, v10, v0
	s_wait_dscnt 0x1
	ds_bpermute_b32 v16, v10, v1
	s_mov_b32 s5, exec_lo
	s_wait_dscnt 0x1
	v_cmpx_ne_u32_e32 0, v15
	s_cbranch_execz .LBB8_17
; %bb.14:                               ;   in Loop: Header=BB8_3 Depth=1
	v_cmp_ne_u32_e64 s3, 0, v0
	s_wait_dscnt 0x0
	v_cmp_nlt_f32_e64 s4, v14, v16
	v_mov_b32_e32 v17, v16
	s_and_b32 s3, s3, s4
	s_delay_alu instid0(SALU_CYCLE_1)
	s_and_saveexec_b32 s4, s3
; %bb.15:                               ;   in Loop: Header=BB8_3 Depth=1
	v_dual_mov_b32 v17, v14 :: v_dual_min_i32 v15, v15, v0
	v_cmp_eq_f32_e64 s3, v14, v16
	s_delay_alu instid0(VALU_DEP_1)
	v_dual_mov_b32 v16, v1 :: v_dual_cndmask_b32 v15, v0, v15, s3
; %bb.16:                               ;   in Loop: Header=BB8_3 Depth=1
	s_or_b32 exec_lo, exec_lo, s4
	s_delay_alu instid0(VALU_DEP_1)
	v_dual_mov_b32 v1, v16 :: v_dual_mov_b32 v0, v15
	v_mov_b32_e32 v14, v17
.LBB8_17:                               ;   in Loop: Header=BB8_3 Depth=1
	s_or_b32 exec_lo, exec_lo, s5
	ds_bpermute_b32 v15, v11, v0
	s_wait_dscnt 0x1
	ds_bpermute_b32 v16, v11, v1
	s_mov_b32 s5, exec_lo
	s_wait_dscnt 0x1
	v_cmpx_ne_u32_e32 0, v15
	s_cbranch_execz .LBB8_21
; %bb.18:                               ;   in Loop: Header=BB8_3 Depth=1
	v_cmp_ne_u32_e64 s3, 0, v0
	s_wait_dscnt 0x0
	v_cmp_nlt_f32_e64 s4, v14, v16
	v_mov_b32_e32 v17, v16
	s_and_b32 s3, s3, s4
	s_delay_alu instid0(SALU_CYCLE_1)
	s_and_saveexec_b32 s4, s3
; %bb.19:                               ;   in Loop: Header=BB8_3 Depth=1
	v_dual_mov_b32 v17, v14 :: v_dual_min_i32 v15, v15, v0
	v_cmp_eq_f32_e64 s3, v14, v16
	s_delay_alu instid0(VALU_DEP_1)
	v_dual_mov_b32 v16, v1 :: v_dual_cndmask_b32 v15, v0, v15, s3
; %bb.20:                               ;   in Loop: Header=BB8_3 Depth=1
	s_or_b32 exec_lo, exec_lo, s4
	s_delay_alu instid0(VALU_DEP_1)
	v_dual_mov_b32 v1, v16 :: v_dual_mov_b32 v0, v15
	v_mov_b32_e32 v14, v17
.LBB8_21:                               ;   in Loop: Header=BB8_3 Depth=1
	s_or_b32 exec_lo, exec_lo, s5
	ds_bpermute_b32 v15, v12, v0
	s_wait_dscnt 0x1
	ds_bpermute_b32 v16, v12, v1
	s_mov_b32 s16, exec_lo
	s_wait_dscnt 0x1
	v_cmpx_ne_u32_e32 0, v15
	s_cbranch_execz .LBB8_23
; %bb.22:                               ;   in Loop: Header=BB8_3 Depth=1
	v_cmp_eq_u32_e64 s3, 0, v0
	s_wait_dscnt 0x0
	v_cmp_lt_f32_e64 s4, v14, v16
	v_cmp_eq_f32_e64 s5, v14, v16
	s_or_b32 s3, s3, s4
	v_min_i32_e32 v17, v15, v0
	s_delay_alu instid0(VALU_DEP_1) | instskip(NEXT) | instid1(VALU_DEP_1)
	v_dual_cndmask_b32 v1, v1, v16, s3 :: v_dual_cndmask_b32 v0, v0, v17, s5
	v_cndmask_b32_e64 v0, v0, v15, s3
.LBB8_23:                               ;   in Loop: Header=BB8_3 Depth=1
	s_or_b32 exec_lo, exec_lo, s16
	s_and_saveexec_b32 s3, s1
; %bb.24:                               ;   in Loop: Header=BB8_3 Depth=1
	ds_store_b64 v13, v[0:1]
; %bb.25:                               ;   in Loop: Header=BB8_3 Depth=1
	s_or_b32 exec_lo, exec_lo, s3
	v_dual_mov_b32 v0, 0 :: v_dual_mov_b32 v1, 0
	s_wait_dscnt 0x0
	s_barrier_signal -1
	s_barrier_wait -1
	s_and_saveexec_b32 s3, s0
	s_cbranch_execnz .LBB8_28
; %bb.26:                               ;   in Loop: Header=BB8_3 Depth=1
	s_or_b32 exec_lo, exec_lo, s3
	s_and_saveexec_b32 s16, s0
	s_cbranch_execnz .LBB8_29
.LBB8_27:                               ;   in Loop: Header=BB8_3 Depth=1
	s_or_b32 exec_lo, exec_lo, s16
	s_and_saveexec_b32 s3, s2
	s_cbranch_execz .LBB8_2
	s_branch .LBB8_46
.LBB8_28:                               ;   in Loop: Header=BB8_3 Depth=1
	ds_load_b64 v[0:1], v7
	s_or_b32 exec_lo, exec_lo, s3
	s_and_saveexec_b32 s16, s0
	s_cbranch_execz .LBB8_27
.LBB8_29:                               ;   in Loop: Header=BB8_3 Depth=1
	s_wait_dscnt 0x0
	ds_bpermute_b32 v14, v8, v0
	ds_bpermute_b32 v15, v8, v1
	s_mov_b32 s17, exec_lo
	s_wait_dscnt 0x1
	v_cmpx_ne_u32_e32 0, v14
	s_cbranch_execz .LBB8_31
; %bb.30:                               ;   in Loop: Header=BB8_3 Depth=1
	v_cmp_eq_u32_e64 s3, 0, v0
	s_wait_dscnt 0x0
	v_cmp_lt_f32_e64 s4, v1, v15
	v_cmp_eq_f32_e64 s5, v1, v15
	s_or_b32 s3, s3, s4
	s_delay_alu instid0(SALU_CYCLE_1) | instskip(NEXT) | instid1(VALU_DEP_1)
	v_dual_cndmask_b32 v1, v1, v15, s3 :: v_dual_min_i32 v16, v14, v0
	v_cndmask_b32_e64 v0, v0, v16, s5
	s_delay_alu instid0(VALU_DEP_1)
	v_cndmask_b32_e64 v0, v0, v14, s3
.LBB8_31:                               ;   in Loop: Header=BB8_3 Depth=1
	s_or_b32 exec_lo, exec_lo, s17
	s_wait_dscnt 0x0
	ds_bpermute_b32 v15, v9, v0
	ds_bpermute_b32 v16, v9, v1
	v_mov_b32_e32 v14, v1
	s_mov_b32 s5, exec_lo
	s_wait_dscnt 0x1
	v_cmpx_ne_u32_e32 0, v15
	s_cbranch_execz .LBB8_35
; %bb.32:                               ;   in Loop: Header=BB8_3 Depth=1
	v_cmp_ne_u32_e64 s3, 0, v0
	s_wait_dscnt 0x0
	v_cmp_nlt_f32_e64 s4, v1, v16
	s_and_b32 s3, s3, s4
	s_delay_alu instid0(SALU_CYCLE_1)
	s_and_saveexec_b32 s4, s3
; %bb.33:                               ;   in Loop: Header=BB8_3 Depth=1
	v_min_i32_e32 v14, v15, v0
	v_cmp_eq_f32_e64 s3, v1, v16
	s_delay_alu instid0(VALU_DEP_1)
	v_dual_mov_b32 v16, v1 :: v_dual_cndmask_b32 v15, v0, v14, s3
; %bb.34:                               ;   in Loop: Header=BB8_3 Depth=1
	s_or_b32 exec_lo, exec_lo, s4
	s_delay_alu instid0(VALU_DEP_1)
	v_dual_mov_b32 v1, v16 :: v_dual_mov_b32 v0, v15
	v_mov_b32_e32 v14, v16
.LBB8_35:                               ;   in Loop: Header=BB8_3 Depth=1
	s_or_b32 exec_lo, exec_lo, s5
	ds_bpermute_b32 v15, v10, v0
	s_wait_dscnt 0x1
	ds_bpermute_b32 v16, v10, v1
	s_mov_b32 s5, exec_lo
	s_wait_dscnt 0x1
	v_cmpx_ne_u32_e32 0, v15
	s_cbranch_execz .LBB8_39
; %bb.36:                               ;   in Loop: Header=BB8_3 Depth=1
	v_cmp_ne_u32_e64 s3, 0, v0
	s_wait_dscnt 0x0
	v_cmp_nlt_f32_e64 s4, v14, v16
	v_mov_b32_e32 v17, v16
	s_and_b32 s3, s3, s4
	s_delay_alu instid0(SALU_CYCLE_1)
	s_and_saveexec_b32 s4, s3
; %bb.37:                               ;   in Loop: Header=BB8_3 Depth=1
	v_dual_mov_b32 v17, v14 :: v_dual_min_i32 v15, v15, v0
	v_cmp_eq_f32_e64 s3, v14, v16
	s_delay_alu instid0(VALU_DEP_1)
	v_dual_mov_b32 v16, v1 :: v_dual_cndmask_b32 v15, v0, v15, s3
; %bb.38:                               ;   in Loop: Header=BB8_3 Depth=1
	s_or_b32 exec_lo, exec_lo, s4
	s_delay_alu instid0(VALU_DEP_1)
	v_dual_mov_b32 v1, v16 :: v_dual_mov_b32 v0, v15
	v_mov_b32_e32 v14, v17
.LBB8_39:                               ;   in Loop: Header=BB8_3 Depth=1
	s_or_b32 exec_lo, exec_lo, s5
	ds_bpermute_b32 v15, v11, v0
	s_wait_dscnt 0x1
	ds_bpermute_b32 v16, v11, v1
	s_mov_b32 s5, exec_lo
	s_wait_dscnt 0x1
	v_cmpx_ne_u32_e32 0, v15
	s_cbranch_execz .LBB8_43
; %bb.40:                               ;   in Loop: Header=BB8_3 Depth=1
	v_cmp_ne_u32_e64 s3, 0, v0
	s_wait_dscnt 0x0
	v_cmp_nlt_f32_e64 s4, v14, v16
	v_mov_b32_e32 v17, v16
	s_and_b32 s3, s3, s4
	s_delay_alu instid0(SALU_CYCLE_1)
	s_and_saveexec_b32 s4, s3
; %bb.41:                               ;   in Loop: Header=BB8_3 Depth=1
	v_dual_mov_b32 v17, v14 :: v_dual_min_i32 v15, v15, v0
	v_cmp_eq_f32_e64 s3, v14, v16
	s_delay_alu instid0(VALU_DEP_1)
	v_dual_mov_b32 v16, v1 :: v_dual_cndmask_b32 v15, v0, v15, s3
; %bb.42:                               ;   in Loop: Header=BB8_3 Depth=1
	s_or_b32 exec_lo, exec_lo, s4
	s_delay_alu instid0(VALU_DEP_1)
	v_dual_mov_b32 v1, v16 :: v_dual_mov_b32 v0, v15
	v_mov_b32_e32 v14, v17
.LBB8_43:                               ;   in Loop: Header=BB8_3 Depth=1
	s_or_b32 exec_lo, exec_lo, s5
	ds_bpermute_b32 v15, v12, v0
	s_wait_dscnt 0x1
	ds_bpermute_b32 v16, v12, v1
	s_mov_b32 s17, exec_lo
	s_wait_dscnt 0x1
	v_cmpx_ne_u32_e32 0, v15
	s_cbranch_execz .LBB8_45
; %bb.44:                               ;   in Loop: Header=BB8_3 Depth=1
	v_cmp_eq_u32_e64 s3, 0, v0
	s_wait_dscnt 0x0
	v_cmp_lt_f32_e64 s4, v14, v16
	v_cmp_eq_f32_e64 s5, v14, v16
	s_or_b32 s3, s3, s4
	v_min_i32_e32 v17, v15, v0
	s_delay_alu instid0(VALU_DEP_1) | instskip(NEXT) | instid1(VALU_DEP_1)
	v_dual_cndmask_b32 v1, v1, v16, s3 :: v_dual_cndmask_b32 v0, v0, v17, s5
	v_cndmask_b32_e64 v0, v0, v15, s3
.LBB8_45:                               ;   in Loop: Header=BB8_3 Depth=1
	s_or_b32 exec_lo, exec_lo, s17
	s_delay_alu instid0(SALU_CYCLE_1)
	s_or_b32 exec_lo, exec_lo, s16
	s_and_saveexec_b32 s3, s2
	s_cbranch_execz .LBB8_2
.LBB8_46:                               ;   in Loop: Header=BB8_3 Depth=1
	v_mov_b32_e32 v14, s14
	s_wait_dscnt 0x0
	global_store_b64 v14, v[0:1], s[6:7] scale_offset
	s_branch .LBB8_2
.LBB8_47:
	s_endpgm
	.section	.rodata,"a",@progbits
	.p2align	6, 0x0
	.amdhsa_kernel _ZL32rocblas_iamax_iamin_kernel_part1ILi1024E23rocblas_fetch_amax_aminIfE19rocblas_reduce_amaxPKPK19rocblas_complex_numIfE21rocblas_index_value_tIfEEviiT2_liliPT3_
		.amdhsa_group_segment_fixed_size 256
		.amdhsa_private_segment_fixed_size 0
		.amdhsa_kernarg_size 56
		.amdhsa_user_sgpr_count 2
		.amdhsa_user_sgpr_dispatch_ptr 0
		.amdhsa_user_sgpr_queue_ptr 0
		.amdhsa_user_sgpr_kernarg_segment_ptr 1
		.amdhsa_user_sgpr_dispatch_id 0
		.amdhsa_user_sgpr_kernarg_preload_length 0
		.amdhsa_user_sgpr_kernarg_preload_offset 0
		.amdhsa_user_sgpr_private_segment_size 0
		.amdhsa_wavefront_size32 1
		.amdhsa_uses_dynamic_stack 0
		.amdhsa_enable_private_segment 0
		.amdhsa_system_sgpr_workgroup_id_x 1
		.amdhsa_system_sgpr_workgroup_id_y 0
		.amdhsa_system_sgpr_workgroup_id_z 1
		.amdhsa_system_sgpr_workgroup_info 0
		.amdhsa_system_vgpr_workitem_id 0
		.amdhsa_next_free_vgpr 18
		.amdhsa_next_free_sgpr 18
		.amdhsa_named_barrier_count 0
		.amdhsa_reserve_vcc 1
		.amdhsa_float_round_mode_32 0
		.amdhsa_float_round_mode_16_64 0
		.amdhsa_float_denorm_mode_32 3
		.amdhsa_float_denorm_mode_16_64 3
		.amdhsa_fp16_overflow 0
		.amdhsa_memory_ordered 1
		.amdhsa_forward_progress 1
		.amdhsa_inst_pref_size 15
		.amdhsa_round_robin_scheduling 0
		.amdhsa_exception_fp_ieee_invalid_op 0
		.amdhsa_exception_fp_denorm_src 0
		.amdhsa_exception_fp_ieee_div_zero 0
		.amdhsa_exception_fp_ieee_overflow 0
		.amdhsa_exception_fp_ieee_underflow 0
		.amdhsa_exception_fp_ieee_inexact 0
		.amdhsa_exception_int_div_zero 0
	.end_amdhsa_kernel
	.section	.text._ZL32rocblas_iamax_iamin_kernel_part1ILi1024E23rocblas_fetch_amax_aminIfE19rocblas_reduce_amaxPKPK19rocblas_complex_numIfE21rocblas_index_value_tIfEEviiT2_liliPT3_,"axG",@progbits,_ZL32rocblas_iamax_iamin_kernel_part1ILi1024E23rocblas_fetch_amax_aminIfE19rocblas_reduce_amaxPKPK19rocblas_complex_numIfE21rocblas_index_value_tIfEEviiT2_liliPT3_,comdat
.Lfunc_end8:
	.size	_ZL32rocblas_iamax_iamin_kernel_part1ILi1024E23rocblas_fetch_amax_aminIfE19rocblas_reduce_amaxPKPK19rocblas_complex_numIfE21rocblas_index_value_tIfEEviiT2_liliPT3_, .Lfunc_end8-_ZL32rocblas_iamax_iamin_kernel_part1ILi1024E23rocblas_fetch_amax_aminIfE19rocblas_reduce_amaxPKPK19rocblas_complex_numIfE21rocblas_index_value_tIfEEviiT2_liliPT3_
                                        ; -- End function
	.set _ZL32rocblas_iamax_iamin_kernel_part1ILi1024E23rocblas_fetch_amax_aminIfE19rocblas_reduce_amaxPKPK19rocblas_complex_numIfE21rocblas_index_value_tIfEEviiT2_liliPT3_.num_vgpr, 18
	.set _ZL32rocblas_iamax_iamin_kernel_part1ILi1024E23rocblas_fetch_amax_aminIfE19rocblas_reduce_amaxPKPK19rocblas_complex_numIfE21rocblas_index_value_tIfEEviiT2_liliPT3_.num_agpr, 0
	.set _ZL32rocblas_iamax_iamin_kernel_part1ILi1024E23rocblas_fetch_amax_aminIfE19rocblas_reduce_amaxPKPK19rocblas_complex_numIfE21rocblas_index_value_tIfEEviiT2_liliPT3_.numbered_sgpr, 18
	.set _ZL32rocblas_iamax_iamin_kernel_part1ILi1024E23rocblas_fetch_amax_aminIfE19rocblas_reduce_amaxPKPK19rocblas_complex_numIfE21rocblas_index_value_tIfEEviiT2_liliPT3_.num_named_barrier, 0
	.set _ZL32rocblas_iamax_iamin_kernel_part1ILi1024E23rocblas_fetch_amax_aminIfE19rocblas_reduce_amaxPKPK19rocblas_complex_numIfE21rocblas_index_value_tIfEEviiT2_liliPT3_.private_seg_size, 0
	.set _ZL32rocblas_iamax_iamin_kernel_part1ILi1024E23rocblas_fetch_amax_aminIfE19rocblas_reduce_amaxPKPK19rocblas_complex_numIfE21rocblas_index_value_tIfEEviiT2_liliPT3_.uses_vcc, 1
	.set _ZL32rocblas_iamax_iamin_kernel_part1ILi1024E23rocblas_fetch_amax_aminIfE19rocblas_reduce_amaxPKPK19rocblas_complex_numIfE21rocblas_index_value_tIfEEviiT2_liliPT3_.uses_flat_scratch, 0
	.set _ZL32rocblas_iamax_iamin_kernel_part1ILi1024E23rocblas_fetch_amax_aminIfE19rocblas_reduce_amaxPKPK19rocblas_complex_numIfE21rocblas_index_value_tIfEEviiT2_liliPT3_.has_dyn_sized_stack, 0
	.set _ZL32rocblas_iamax_iamin_kernel_part1ILi1024E23rocblas_fetch_amax_aminIfE19rocblas_reduce_amaxPKPK19rocblas_complex_numIfE21rocblas_index_value_tIfEEviiT2_liliPT3_.has_recursion, 0
	.set _ZL32rocblas_iamax_iamin_kernel_part1ILi1024E23rocblas_fetch_amax_aminIfE19rocblas_reduce_amaxPKPK19rocblas_complex_numIfE21rocblas_index_value_tIfEEviiT2_liliPT3_.has_indirect_call, 0
	.section	.AMDGPU.csdata,"",@progbits
; Kernel info:
; codeLenInByte = 1860
; TotalNumSgprs: 20
; NumVgprs: 18
; ScratchSize: 0
; MemoryBound: 0
; FloatMode: 240
; IeeeMode: 1
; LDSByteSize: 256 bytes/workgroup (compile time only)
; SGPRBlocks: 0
; VGPRBlocks: 1
; NumSGPRsForWavesPerEU: 20
; NumVGPRsForWavesPerEU: 18
; NamedBarCnt: 0
; Occupancy: 16
; WaveLimiterHint : 1
; COMPUTE_PGM_RSRC2:SCRATCH_EN: 0
; COMPUTE_PGM_RSRC2:USER_SGPR: 2
; COMPUTE_PGM_RSRC2:TRAP_HANDLER: 0
; COMPUTE_PGM_RSRC2:TGID_X_EN: 1
; COMPUTE_PGM_RSRC2:TGID_Y_EN: 0
; COMPUTE_PGM_RSRC2:TGID_Z_EN: 1
; COMPUTE_PGM_RSRC2:TIDIG_COMP_CNT: 0
	.section	.text._ZL32rocblas_iamax_iamin_kernel_part1ILi1024E23rocblas_fetch_amax_aminIdE19rocblas_reduce_amaxPKPK19rocblas_complex_numIdE21rocblas_index_value_tIdEEviiT2_liliPT3_,"axG",@progbits,_ZL32rocblas_iamax_iamin_kernel_part1ILi1024E23rocblas_fetch_amax_aminIdE19rocblas_reduce_amaxPKPK19rocblas_complex_numIdE21rocblas_index_value_tIdEEviiT2_liliPT3_,comdat
	.globl	_ZL32rocblas_iamax_iamin_kernel_part1ILi1024E23rocblas_fetch_amax_aminIdE19rocblas_reduce_amaxPKPK19rocblas_complex_numIdE21rocblas_index_value_tIdEEviiT2_liliPT3_ ; -- Begin function _ZL32rocblas_iamax_iamin_kernel_part1ILi1024E23rocblas_fetch_amax_aminIdE19rocblas_reduce_amaxPKPK19rocblas_complex_numIdE21rocblas_index_value_tIdEEviiT2_liliPT3_
	.p2align	8
	.type	_ZL32rocblas_iamax_iamin_kernel_part1ILi1024E23rocblas_fetch_amax_aminIdE19rocblas_reduce_amaxPKPK19rocblas_complex_numIdE21rocblas_index_value_tIdEEviiT2_liliPT3_,@function
_ZL32rocblas_iamax_iamin_kernel_part1ILi1024E23rocblas_fetch_amax_aminIdE19rocblas_reduce_amaxPKPK19rocblas_complex_numIdE21rocblas_index_value_tIdEEviiT2_liliPT3_: ; @_ZL32rocblas_iamax_iamin_kernel_part1ILi1024E23rocblas_fetch_amax_aminIdE19rocblas_reduce_amaxPKPK19rocblas_complex_numIdE21rocblas_index_value_tIdEEviiT2_liliPT3_
; %bb.0:
	s_load_b32 s14, s[0:1], 0x28
	s_bfe_u32 s2, ttmp6, 0x40014
	s_lshr_b32 s3, ttmp7, 16
	s_add_co_i32 s2, s2, 1
	s_bfe_u32 s5, ttmp6, 0x40008
	s_mul_i32 s4, s3, s2
	s_getreg_b32 s2, hwreg(HW_REG_IB_STS2, 6, 4)
	s_add_co_i32 s5, s5, s4
	s_cmp_eq_u32 s2, 0
	s_mov_b32 s7, 0
	s_cselect_b32 s15, s3, s5
	s_wait_kmcnt 0x0
	s_cmp_ge_u32 s15, s14
	s_cbranch_scc1 .LBB9_51
; %bb.1:
	s_clause 0x1
	s_load_b32 s4, s[0:1], 0x18
	s_load_b64 s[16:17], s[0:1], 0x0
	s_bfe_u32 s3, ttmp6, 0x4000c
	s_and_b32 s5, ttmp6, 15
	s_add_co_i32 s3, s3, 1
	v_dual_mov_b32 v3, 0 :: v_dual_bitop2_b32 v1, 31, v0 bitop3:0x40
	s_mul_i32 s3, ttmp9, s3
	v_mbcnt_lo_u32_b32 v6, -1, 0
	s_add_co_i32 s3, s5, s3
	s_clause 0x1
	s_load_b64 s[12:13], s[0:1], 0x30
	s_load_b128 s[8:11], s[0:1], 0x8
	v_lshlrev_b32_e32 v14, 4, v1
	v_lshl_or_b32 v15, v6, 2, 64
	s_wait_kmcnt 0x0
	s_ashr_i32 s5, s4, 31
	s_cmp_eq_u32 s2, 0
	s_mov_b32 s0, s16
	s_cselect_b32 s3, ttmp9, s3
	s_ashr_i32 s1, s16, 31
	v_lshl_or_b32 v2, s3, 10, v0
	v_cmp_eq_u32_e64 s2, 0, v0
	s_lshl_b32 s16, s17, 16
	v_mul_u64_e32 v[4:5], s[4:5], v[2:3]
	v_cmp_gt_i64_e32 vcc_lo, s[0:1], v[2:3]
	v_cmp_gt_u32_e64 s1, 24, v6
	v_add_nc_u32_e32 v2, 1, v2
	v_cmp_gt_u32_e64 s0, 32, v0
	s_mul_i32 s4, s15, s17
	s_lshl_b64 s[10:11], s[10:11], 4
	v_cndmask_b32_e64 v7, 0, 8, s1
	v_cmp_gt_u32_e64 s1, 28, v6
	s_add_co_i32 s6, s3, s4
	v_add_lshl_u32 v16, v7, v6, 2
	v_cndmask_b32_e64 v8, 0, 4, s1
	v_cmp_gt_u32_e64 s1, 30, v6
	s_delay_alu instid0(VALU_DEP_2) | instskip(NEXT) | instid1(VALU_DEP_2)
	v_add_lshl_u32 v17, v8, v6, 2
	v_cndmask_b32_e64 v9, 0, 2, s1
	v_cmp_ne_u32_e64 s1, 31, v6
	s_delay_alu instid0(VALU_DEP_2) | instskip(NEXT) | instid1(VALU_DEP_2)
	v_add_lshl_u32 v18, v9, v6, 2
	v_add_co_ci_u32_e64 v10, null, 0, v6, s1
	v_lshrrev_b32_e32 v7, 1, v0
	v_cmp_eq_u32_e64 s1, 0, v1
	s_delay_alu instid0(VALU_DEP_3) | instskip(NEXT) | instid1(VALU_DEP_3)
	v_lshlrev_b32_e32 v19, 2, v10
	v_and_b32_e32 v20, 0x1f0, v7
	v_mov_b64_e32 v[6:7], 0
	s_branch .LBB9_3
.LBB9_2:                                ;   in Loop: Header=BB9_3 Depth=1
	s_wait_xcnt 0x0
	s_or_b32 exec_lo, exec_lo, s3
	s_add_co_i32 s15, s15, 0x10000
	s_add_co_i32 s6, s6, s16
	s_cmp_lt_u32 s15, s14
	s_cbranch_scc0 .LBB9_51
.LBB9_3:                                ; =>This Inner Loop Header: Depth=1
	s_wait_dscnt 0x1
	v_mov_b32_e32 v21, 0
                                        ; implicit-def: $vgpr0_vgpr1
	s_and_saveexec_b32 s4, vcc_lo
	s_cbranch_execz .LBB9_5
; %bb.4:                                ;   in Loop: Header=BB9_3 Depth=1
	s_wait_dscnt 0x0
	v_dual_mov_b32 v0, s15 :: v_dual_mov_b32 v21, v2
	global_load_b64 v[0:1], v0, s[8:9] scale_offset
	s_wait_loadcnt 0x0
	s_wait_xcnt 0x0
	v_add_nc_u64_e32 v[0:1], s[10:11], v[0:1]
	s_delay_alu instid0(VALU_DEP_1)
	v_lshl_add_u64 v[0:1], v[4:5], 4, v[0:1]
	flat_load_b128 v[8:11], v[0:1]
	s_wait_loadcnt_dscnt 0x0
	v_cmp_gt_f64_e64 s3, 0, v[8:9]
	s_wait_xcnt 0x0
	v_xor_b32_e32 v0, 0x80000000, v9
	v_xor_b32_e32 v1, 0x80000000, v11
	s_delay_alu instid0(VALU_DEP_2) | instskip(SKIP_1) | instid1(VALU_DEP_1)
	v_cndmask_b32_e64 v9, v9, v0, s3
	v_cmp_gt_f64_e64 s3, 0, v[10:11]
	v_cndmask_b32_e64 v11, v11, v1, s3
	s_delay_alu instid0(VALU_DEP_1)
	v_add_f64_e32 v[0:1], v[8:9], v[10:11]
.LBB9_5:                                ;   in Loop: Header=BB9_3 Depth=1
	s_or_b32 exec_lo, exec_lo, s4
	s_and_saveexec_b32 s3, s0
	s_cbranch_execz .LBB9_7
; %bb.6:                                ;   in Loop: Header=BB9_3 Depth=1
	ds_store_b32 v14, v3
	ds_store_b64 v14, v[6:7] offset:8
.LBB9_7:                                ;   in Loop: Header=BB9_3 Depth=1
	s_or_b32 exec_lo, exec_lo, s3
	ds_bpermute_b32 v12, v15, v21
	s_wait_dscnt 0x1
	ds_bpermute_b32 v10, v15, v0
	ds_bpermute_b32 v11, v15, v1
	v_mov_b64_e32 v[8:9], v[0:1]
	s_mov_b32 s5, exec_lo
	s_wait_dscnt 0x0
	s_barrier_signal -1
	s_barrier_wait -1
	v_cmpx_ne_u32_e32 0, v12
	s_cbranch_execz .LBB9_11
; %bb.8:                                ;   in Loop: Header=BB9_3 Depth=1
	v_cmp_nlt_f64_e64 s3, v[0:1], v[10:11]
	v_cmp_ne_u32_e64 s4, 0, v21
	v_mov_b64_e32 v[8:9], v[10:11]
	s_and_b32 s3, s4, s3
	s_delay_alu instid0(SALU_CYCLE_1)
	s_and_saveexec_b32 s4, s3
	s_cbranch_execz .LBB9_10
; %bb.9:                                ;   in Loop: Header=BB9_3 Depth=1
	v_cmp_eq_f64_e64 s3, v[0:1], v[10:11]
	v_dual_mov_b32 v11, v1 :: v_dual_min_i32 v12, v12, v21
	v_mov_b64_e32 v[8:9], v[0:1]
	s_delay_alu instid0(VALU_DEP_2)
	v_dual_mov_b32 v10, v0 :: v_dual_cndmask_b32 v12, v21, v12, s3
.LBB9_10:                               ;   in Loop: Header=BB9_3 Depth=1
	s_or_b32 exec_lo, exec_lo, s4
	s_delay_alu instid0(VALU_DEP_1) | instskip(NEXT) | instid1(VALU_DEP_2)
	v_dual_mov_b32 v1, v11 :: v_dual_mov_b32 v0, v10
	v_mov_b32_e32 v21, v12
.LBB9_11:                               ;   in Loop: Header=BB9_3 Depth=1
	s_or_b32 exec_lo, exec_lo, s5
	ds_bpermute_b32 v22, v16, v21
	ds_bpermute_b32 v10, v16, v0
	;; [unrolled: 1-line block ×3, first 2 shown]
	s_mov_b32 s5, exec_lo
	s_wait_dscnt 0x2
	v_cmpx_ne_u32_e32 0, v22
	s_cbranch_execz .LBB9_15
; %bb.12:                               ;   in Loop: Header=BB9_3 Depth=1
	s_wait_dscnt 0x0
	v_cmp_nlt_f64_e64 s3, v[8:9], v[10:11]
	v_cmp_ne_u32_e64 s4, 0, v21
	v_mov_b64_e32 v[12:13], v[10:11]
	s_and_b32 s3, s4, s3
	s_delay_alu instid0(SALU_CYCLE_1)
	s_and_saveexec_b32 s4, s3
	s_cbranch_execz .LBB9_14
; %bb.13:                               ;   in Loop: Header=BB9_3 Depth=1
	v_cmp_eq_f64_e64 s3, v[8:9], v[10:11]
	v_dual_mov_b32 v10, v0 :: v_dual_min_i32 v22, v22, v21
	v_mov_b64_e32 v[12:13], v[8:9]
	v_mov_b32_e32 v11, v1
	s_delay_alu instid0(VALU_DEP_3)
	v_cndmask_b32_e64 v22, v21, v22, s3
.LBB9_14:                               ;   in Loop: Header=BB9_3 Depth=1
	s_or_b32 exec_lo, exec_lo, s4
	s_delay_alu instid0(VALU_DEP_1) | instskip(NEXT) | instid1(VALU_DEP_3)
	v_mov_b64_e32 v[8:9], v[12:13]
	v_dual_mov_b32 v1, v11 :: v_dual_mov_b32 v0, v10
	s_delay_alu instid0(VALU_DEP_3)
	v_mov_b32_e32 v21, v22
.LBB9_15:                               ;   in Loop: Header=BB9_3 Depth=1
	s_or_b32 exec_lo, exec_lo, s5
	ds_bpermute_b32 v22, v17, v21
	s_wait_dscnt 0x2
	ds_bpermute_b32 v10, v17, v0
	s_wait_dscnt 0x2
	ds_bpermute_b32 v11, v17, v1
	s_mov_b32 s5, exec_lo
	s_wait_dscnt 0x2
	v_cmpx_ne_u32_e32 0, v22
	s_cbranch_execz .LBB9_19
; %bb.16:                               ;   in Loop: Header=BB9_3 Depth=1
	s_wait_dscnt 0x0
	v_cmp_nlt_f64_e64 s3, v[8:9], v[10:11]
	v_cmp_ne_u32_e64 s4, 0, v21
	v_mov_b64_e32 v[12:13], v[10:11]
	s_and_b32 s3, s4, s3
	s_delay_alu instid0(SALU_CYCLE_1)
	s_and_saveexec_b32 s4, s3
	s_cbranch_execz .LBB9_18
; %bb.17:                               ;   in Loop: Header=BB9_3 Depth=1
	v_cmp_eq_f64_e64 s3, v[8:9], v[10:11]
	v_dual_mov_b32 v10, v0 :: v_dual_min_i32 v22, v22, v21
	v_mov_b64_e32 v[12:13], v[8:9]
	v_mov_b32_e32 v11, v1
	s_delay_alu instid0(VALU_DEP_3)
	v_cndmask_b32_e64 v22, v21, v22, s3
.LBB9_18:                               ;   in Loop: Header=BB9_3 Depth=1
	s_or_b32 exec_lo, exec_lo, s4
	s_delay_alu instid0(VALU_DEP_1) | instskip(NEXT) | instid1(VALU_DEP_3)
	v_mov_b64_e32 v[8:9], v[12:13]
	v_dual_mov_b32 v1, v11 :: v_dual_mov_b32 v0, v10
	s_delay_alu instid0(VALU_DEP_3)
	v_mov_b32_e32 v21, v22
.LBB9_19:                               ;   in Loop: Header=BB9_3 Depth=1
	s_or_b32 exec_lo, exec_lo, s5
	ds_bpermute_b32 v22, v18, v21
	s_wait_dscnt 0x2
	ds_bpermute_b32 v10, v18, v0
	s_wait_dscnt 0x2
	ds_bpermute_b32 v11, v18, v1
	s_mov_b32 s5, exec_lo
	s_wait_dscnt 0x2
	v_cmpx_ne_u32_e32 0, v22
	s_cbranch_execz .LBB9_23
; %bb.20:                               ;   in Loop: Header=BB9_3 Depth=1
	s_wait_dscnt 0x0
	v_cmp_nlt_f64_e64 s3, v[8:9], v[10:11]
	v_cmp_ne_u32_e64 s4, 0, v21
	v_mov_b64_e32 v[12:13], v[10:11]
	s_and_b32 s3, s4, s3
	s_delay_alu instid0(SALU_CYCLE_1)
	s_and_saveexec_b32 s4, s3
	s_cbranch_execz .LBB9_22
; %bb.21:                               ;   in Loop: Header=BB9_3 Depth=1
	v_cmp_eq_f64_e64 s3, v[8:9], v[10:11]
	v_dual_mov_b32 v10, v0 :: v_dual_min_i32 v22, v22, v21
	v_mov_b64_e32 v[12:13], v[8:9]
	v_mov_b32_e32 v11, v1
	s_delay_alu instid0(VALU_DEP_3)
	v_cndmask_b32_e64 v22, v21, v22, s3
.LBB9_22:                               ;   in Loop: Header=BB9_3 Depth=1
	s_or_b32 exec_lo, exec_lo, s4
	s_delay_alu instid0(VALU_DEP_1) | instskip(NEXT) | instid1(VALU_DEP_3)
	v_mov_b64_e32 v[8:9], v[12:13]
	v_dual_mov_b32 v1, v11 :: v_dual_mov_b32 v0, v10
	s_delay_alu instid0(VALU_DEP_3)
	v_mov_b32_e32 v21, v22
.LBB9_23:                               ;   in Loop: Header=BB9_3 Depth=1
	s_or_b32 exec_lo, exec_lo, s5
	s_wait_dscnt 0x1
	ds_bpermute_b32 v10, v19, v21
	ds_bpermute_b32 v0, v19, v0
	;; [unrolled: 1-line block ×3, first 2 shown]
	s_mov_b32 s17, exec_lo
	s_wait_dscnt 0x2
	v_cmpx_ne_u32_e32 0, v10
	s_cbranch_execz .LBB9_25
; %bb.24:                               ;   in Loop: Header=BB9_3 Depth=1
	s_wait_dscnt 0x0
	v_cmp_lt_f64_e64 s3, v[8:9], v[0:1]
	v_cmp_eq_f64_e64 s5, v[8:9], v[0:1]
	v_cmp_eq_u32_e64 s4, 0, v21
	s_or_b32 s3, s4, s3
	s_delay_alu instid0(SALU_CYCLE_1) | instskip(SKIP_1) | instid1(VALU_DEP_2)
	v_dual_cndmask_b32 v8, v8, v0, s3 :: v_dual_min_i32 v11, v10, v21
	v_cndmask_b32_e64 v9, v9, v1, s3
	v_cndmask_b32_e64 v11, v21, v11, s5
	s_delay_alu instid0(VALU_DEP_1)
	v_cndmask_b32_e64 v21, v11, v10, s3
.LBB9_25:                               ;   in Loop: Header=BB9_3 Depth=1
	s_or_b32 exec_lo, exec_lo, s17
	s_and_saveexec_b32 s3, s1
	s_cbranch_execz .LBB9_27
; %bb.26:                               ;   in Loop: Header=BB9_3 Depth=1
	ds_store_b32 v20, v21
	ds_store_b64 v20, v[8:9] offset:8
.LBB9_27:                               ;   in Loop: Header=BB9_3 Depth=1
	s_or_b32 exec_lo, exec_lo, s3
	s_wait_dscnt 0x0
	v_mov_b64_e32 v[0:1], 0
	v_mov_b32_e32 v21, 0
	s_barrier_signal -1
	s_barrier_wait -1
	s_and_saveexec_b32 s3, s0
	s_cbranch_execnz .LBB9_30
; %bb.28:                               ;   in Loop: Header=BB9_3 Depth=1
	s_or_b32 exec_lo, exec_lo, s3
	s_and_saveexec_b32 s17, s0
	s_cbranch_execnz .LBB9_31
.LBB9_29:                               ;   in Loop: Header=BB9_3 Depth=1
	s_or_b32 exec_lo, exec_lo, s17
	s_and_saveexec_b32 s3, s2
	s_cbranch_execz .LBB9_2
	s_branch .LBB9_50
.LBB9_30:                               ;   in Loop: Header=BB9_3 Depth=1
	ds_load_b32 v21, v14
	ds_load_b64 v[0:1], v14 offset:8
	s_or_b32 exec_lo, exec_lo, s3
	s_and_saveexec_b32 s17, s0
	s_cbranch_execz .LBB9_29
.LBB9_31:                               ;   in Loop: Header=BB9_3 Depth=1
	s_wait_dscnt 0x1
	ds_bpermute_b32 v12, v15, v21
	s_wait_dscnt 0x1
	ds_bpermute_b32 v10, v15, v0
	ds_bpermute_b32 v11, v15, v1
	v_mov_b64_e32 v[8:9], v[0:1]
	s_mov_b32 s5, exec_lo
	s_wait_dscnt 0x2
	v_cmpx_ne_u32_e32 0, v12
	s_cbranch_execz .LBB9_35
; %bb.32:                               ;   in Loop: Header=BB9_3 Depth=1
	s_wait_dscnt 0x0
	v_cmp_nlt_f64_e64 s3, v[0:1], v[10:11]
	v_cmp_ne_u32_e64 s4, 0, v21
	v_mov_b64_e32 v[8:9], v[10:11]
	s_and_b32 s3, s4, s3
	s_delay_alu instid0(SALU_CYCLE_1)
	s_and_saveexec_b32 s4, s3
	s_cbranch_execz .LBB9_34
; %bb.33:                               ;   in Loop: Header=BB9_3 Depth=1
	v_cmp_eq_f64_e64 s3, v[0:1], v[10:11]
	v_dual_mov_b32 v11, v1 :: v_dual_min_i32 v12, v12, v21
	v_mov_b64_e32 v[8:9], v[0:1]
	s_delay_alu instid0(VALU_DEP_2)
	v_dual_mov_b32 v10, v0 :: v_dual_cndmask_b32 v12, v21, v12, s3
.LBB9_34:                               ;   in Loop: Header=BB9_3 Depth=1
	s_or_b32 exec_lo, exec_lo, s4
	s_delay_alu instid0(VALU_DEP_1) | instskip(NEXT) | instid1(VALU_DEP_2)
	v_dual_mov_b32 v1, v11 :: v_dual_mov_b32 v0, v10
	v_mov_b32_e32 v21, v12
.LBB9_35:                               ;   in Loop: Header=BB9_3 Depth=1
	s_or_b32 exec_lo, exec_lo, s5
	ds_bpermute_b32 v22, v16, v21
	s_wait_dscnt 0x2
	ds_bpermute_b32 v10, v16, v0
	s_wait_dscnt 0x2
	ds_bpermute_b32 v11, v16, v1
	s_mov_b32 s5, exec_lo
	s_wait_dscnt 0x2
	v_cmpx_ne_u32_e32 0, v22
	s_cbranch_execz .LBB9_39
; %bb.36:                               ;   in Loop: Header=BB9_3 Depth=1
	s_wait_dscnt 0x0
	v_cmp_nlt_f64_e64 s3, v[8:9], v[10:11]
	v_cmp_ne_u32_e64 s4, 0, v21
	v_mov_b64_e32 v[12:13], v[10:11]
	s_and_b32 s3, s4, s3
	s_delay_alu instid0(SALU_CYCLE_1)
	s_and_saveexec_b32 s4, s3
	s_cbranch_execz .LBB9_38
; %bb.37:                               ;   in Loop: Header=BB9_3 Depth=1
	v_cmp_eq_f64_e64 s3, v[8:9], v[10:11]
	v_dual_mov_b32 v10, v0 :: v_dual_min_i32 v22, v22, v21
	v_mov_b64_e32 v[12:13], v[8:9]
	v_mov_b32_e32 v11, v1
	s_delay_alu instid0(VALU_DEP_3)
	v_cndmask_b32_e64 v22, v21, v22, s3
.LBB9_38:                               ;   in Loop: Header=BB9_3 Depth=1
	s_or_b32 exec_lo, exec_lo, s4
	s_delay_alu instid0(VALU_DEP_1) | instskip(NEXT) | instid1(VALU_DEP_3)
	v_mov_b64_e32 v[8:9], v[12:13]
	v_dual_mov_b32 v1, v11 :: v_dual_mov_b32 v0, v10
	s_delay_alu instid0(VALU_DEP_3)
	v_mov_b32_e32 v21, v22
.LBB9_39:                               ;   in Loop: Header=BB9_3 Depth=1
	s_or_b32 exec_lo, exec_lo, s5
	ds_bpermute_b32 v22, v17, v21
	s_wait_dscnt 0x2
	ds_bpermute_b32 v10, v17, v0
	s_wait_dscnt 0x2
	ds_bpermute_b32 v11, v17, v1
	s_mov_b32 s5, exec_lo
	s_wait_dscnt 0x2
	v_cmpx_ne_u32_e32 0, v22
	s_cbranch_execz .LBB9_43
; %bb.40:                               ;   in Loop: Header=BB9_3 Depth=1
	s_wait_dscnt 0x0
	v_cmp_nlt_f64_e64 s3, v[8:9], v[10:11]
	v_cmp_ne_u32_e64 s4, 0, v21
	v_mov_b64_e32 v[12:13], v[10:11]
	s_and_b32 s3, s4, s3
	s_delay_alu instid0(SALU_CYCLE_1)
	s_and_saveexec_b32 s4, s3
	s_cbranch_execz .LBB9_42
; %bb.41:                               ;   in Loop: Header=BB9_3 Depth=1
	v_cmp_eq_f64_e64 s3, v[8:9], v[10:11]
	v_dual_mov_b32 v10, v0 :: v_dual_min_i32 v22, v22, v21
	v_mov_b64_e32 v[12:13], v[8:9]
	v_mov_b32_e32 v11, v1
	s_delay_alu instid0(VALU_DEP_3)
	v_cndmask_b32_e64 v22, v21, v22, s3
.LBB9_42:                               ;   in Loop: Header=BB9_3 Depth=1
	s_or_b32 exec_lo, exec_lo, s4
	s_delay_alu instid0(VALU_DEP_1) | instskip(NEXT) | instid1(VALU_DEP_3)
	v_mov_b64_e32 v[8:9], v[12:13]
	v_dual_mov_b32 v1, v11 :: v_dual_mov_b32 v0, v10
	s_delay_alu instid0(VALU_DEP_3)
	v_mov_b32_e32 v21, v22
.LBB9_43:                               ;   in Loop: Header=BB9_3 Depth=1
	;; [unrolled: 34-line block ×3, first 2 shown]
	s_or_b32 exec_lo, exec_lo, s5
	s_wait_dscnt 0x1
	ds_bpermute_b32 v10, v19, v21
	ds_bpermute_b32 v0, v19, v0
	;; [unrolled: 1-line block ×3, first 2 shown]
	s_mov_b32 s18, exec_lo
	s_wait_dscnt 0x2
	v_cmpx_ne_u32_e32 0, v10
	s_cbranch_execz .LBB9_49
; %bb.48:                               ;   in Loop: Header=BB9_3 Depth=1
	s_wait_dscnt 0x0
	v_cmp_lt_f64_e64 s3, v[8:9], v[0:1]
	v_cmp_eq_f64_e64 s5, v[8:9], v[0:1]
	v_cmp_eq_u32_e64 s4, 0, v21
	s_or_b32 s3, s4, s3
	s_delay_alu instid0(SALU_CYCLE_1) | instskip(SKIP_1) | instid1(VALU_DEP_2)
	v_dual_cndmask_b32 v8, v8, v0, s3 :: v_dual_min_i32 v11, v10, v21
	v_cndmask_b32_e64 v9, v9, v1, s3
	v_cndmask_b32_e64 v11, v21, v11, s5
	s_delay_alu instid0(VALU_DEP_1)
	v_cndmask_b32_e64 v21, v11, v10, s3
.LBB9_49:                               ;   in Loop: Header=BB9_3 Depth=1
	s_or_b32 exec_lo, exec_lo, s18
	s_wait_dscnt 0x0
	v_mov_b64_e32 v[0:1], v[8:9]
	s_or_b32 exec_lo, exec_lo, s17
	s_and_saveexec_b32 s3, s2
	s_cbranch_execz .LBB9_2
.LBB9_50:                               ;   in Loop: Header=BB9_3 Depth=1
	s_lshl_b64 s[4:5], s[6:7], 4
	s_delay_alu instid0(SALU_CYCLE_1)
	s_add_nc_u64 s[4:5], s[12:13], s[4:5]
	s_wait_dscnt 0x1
	global_store_b32 v3, v21, s[4:5]
	s_wait_dscnt 0x0
	global_store_b64 v3, v[0:1], s[4:5] offset:8
	s_branch .LBB9_2
.LBB9_51:
	s_endpgm
	.section	.rodata,"a",@progbits
	.p2align	6, 0x0
	.amdhsa_kernel _ZL32rocblas_iamax_iamin_kernel_part1ILi1024E23rocblas_fetch_amax_aminIdE19rocblas_reduce_amaxPKPK19rocblas_complex_numIdE21rocblas_index_value_tIdEEviiT2_liliPT3_
		.amdhsa_group_segment_fixed_size 512
		.amdhsa_private_segment_fixed_size 0
		.amdhsa_kernarg_size 56
		.amdhsa_user_sgpr_count 2
		.amdhsa_user_sgpr_dispatch_ptr 0
		.amdhsa_user_sgpr_queue_ptr 0
		.amdhsa_user_sgpr_kernarg_segment_ptr 1
		.amdhsa_user_sgpr_dispatch_id 0
		.amdhsa_user_sgpr_kernarg_preload_length 0
		.amdhsa_user_sgpr_kernarg_preload_offset 0
		.amdhsa_user_sgpr_private_segment_size 0
		.amdhsa_wavefront_size32 1
		.amdhsa_uses_dynamic_stack 0
		.amdhsa_enable_private_segment 0
		.amdhsa_system_sgpr_workgroup_id_x 1
		.amdhsa_system_sgpr_workgroup_id_y 0
		.amdhsa_system_sgpr_workgroup_id_z 1
		.amdhsa_system_sgpr_workgroup_info 0
		.amdhsa_system_vgpr_workitem_id 0
		.amdhsa_next_free_vgpr 23
		.amdhsa_next_free_sgpr 19
		.amdhsa_named_barrier_count 0
		.amdhsa_reserve_vcc 1
		.amdhsa_float_round_mode_32 0
		.amdhsa_float_round_mode_16_64 0
		.amdhsa_float_denorm_mode_32 3
		.amdhsa_float_denorm_mode_16_64 3
		.amdhsa_fp16_overflow 0
		.amdhsa_memory_ordered 1
		.amdhsa_forward_progress 1
		.amdhsa_inst_pref_size 18
		.amdhsa_round_robin_scheduling 0
		.amdhsa_exception_fp_ieee_invalid_op 0
		.amdhsa_exception_fp_denorm_src 0
		.amdhsa_exception_fp_ieee_div_zero 0
		.amdhsa_exception_fp_ieee_overflow 0
		.amdhsa_exception_fp_ieee_underflow 0
		.amdhsa_exception_fp_ieee_inexact 0
		.amdhsa_exception_int_div_zero 0
	.end_amdhsa_kernel
	.section	.text._ZL32rocblas_iamax_iamin_kernel_part1ILi1024E23rocblas_fetch_amax_aminIdE19rocblas_reduce_amaxPKPK19rocblas_complex_numIdE21rocblas_index_value_tIdEEviiT2_liliPT3_,"axG",@progbits,_ZL32rocblas_iamax_iamin_kernel_part1ILi1024E23rocblas_fetch_amax_aminIdE19rocblas_reduce_amaxPKPK19rocblas_complex_numIdE21rocblas_index_value_tIdEEviiT2_liliPT3_,comdat
.Lfunc_end9:
	.size	_ZL32rocblas_iamax_iamin_kernel_part1ILi1024E23rocblas_fetch_amax_aminIdE19rocblas_reduce_amaxPKPK19rocblas_complex_numIdE21rocblas_index_value_tIdEEviiT2_liliPT3_, .Lfunc_end9-_ZL32rocblas_iamax_iamin_kernel_part1ILi1024E23rocblas_fetch_amax_aminIdE19rocblas_reduce_amaxPKPK19rocblas_complex_numIdE21rocblas_index_value_tIdEEviiT2_liliPT3_
                                        ; -- End function
	.set _ZL32rocblas_iamax_iamin_kernel_part1ILi1024E23rocblas_fetch_amax_aminIdE19rocblas_reduce_amaxPKPK19rocblas_complex_numIdE21rocblas_index_value_tIdEEviiT2_liliPT3_.num_vgpr, 23
	.set _ZL32rocblas_iamax_iamin_kernel_part1ILi1024E23rocblas_fetch_amax_aminIdE19rocblas_reduce_amaxPKPK19rocblas_complex_numIdE21rocblas_index_value_tIdEEviiT2_liliPT3_.num_agpr, 0
	.set _ZL32rocblas_iamax_iamin_kernel_part1ILi1024E23rocblas_fetch_amax_aminIdE19rocblas_reduce_amaxPKPK19rocblas_complex_numIdE21rocblas_index_value_tIdEEviiT2_liliPT3_.numbered_sgpr, 19
	.set _ZL32rocblas_iamax_iamin_kernel_part1ILi1024E23rocblas_fetch_amax_aminIdE19rocblas_reduce_amaxPKPK19rocblas_complex_numIdE21rocblas_index_value_tIdEEviiT2_liliPT3_.num_named_barrier, 0
	.set _ZL32rocblas_iamax_iamin_kernel_part1ILi1024E23rocblas_fetch_amax_aminIdE19rocblas_reduce_amaxPKPK19rocblas_complex_numIdE21rocblas_index_value_tIdEEviiT2_liliPT3_.private_seg_size, 0
	.set _ZL32rocblas_iamax_iamin_kernel_part1ILi1024E23rocblas_fetch_amax_aminIdE19rocblas_reduce_amaxPKPK19rocblas_complex_numIdE21rocblas_index_value_tIdEEviiT2_liliPT3_.uses_vcc, 1
	.set _ZL32rocblas_iamax_iamin_kernel_part1ILi1024E23rocblas_fetch_amax_aminIdE19rocblas_reduce_amaxPKPK19rocblas_complex_numIdE21rocblas_index_value_tIdEEviiT2_liliPT3_.uses_flat_scratch, 0
	.set _ZL32rocblas_iamax_iamin_kernel_part1ILi1024E23rocblas_fetch_amax_aminIdE19rocblas_reduce_amaxPKPK19rocblas_complex_numIdE21rocblas_index_value_tIdEEviiT2_liliPT3_.has_dyn_sized_stack, 0
	.set _ZL32rocblas_iamax_iamin_kernel_part1ILi1024E23rocblas_fetch_amax_aminIdE19rocblas_reduce_amaxPKPK19rocblas_complex_numIdE21rocblas_index_value_tIdEEviiT2_liliPT3_.has_recursion, 0
	.set _ZL32rocblas_iamax_iamin_kernel_part1ILi1024E23rocblas_fetch_amax_aminIdE19rocblas_reduce_amaxPKPK19rocblas_complex_numIdE21rocblas_index_value_tIdEEviiT2_liliPT3_.has_indirect_call, 0
	.section	.AMDGPU.csdata,"",@progbits
; Kernel info:
; codeLenInByte = 2264
; TotalNumSgprs: 21
; NumVgprs: 23
; ScratchSize: 0
; MemoryBound: 0
; FloatMode: 240
; IeeeMode: 1
; LDSByteSize: 512 bytes/workgroup (compile time only)
; SGPRBlocks: 0
; VGPRBlocks: 1
; NumSGPRsForWavesPerEU: 21
; NumVGPRsForWavesPerEU: 23
; NamedBarCnt: 0
; Occupancy: 16
; WaveLimiterHint : 1
; COMPUTE_PGM_RSRC2:SCRATCH_EN: 0
; COMPUTE_PGM_RSRC2:USER_SGPR: 2
; COMPUTE_PGM_RSRC2:TRAP_HANDLER: 0
; COMPUTE_PGM_RSRC2:TGID_X_EN: 1
; COMPUTE_PGM_RSRC2:TGID_Y_EN: 0
; COMPUTE_PGM_RSRC2:TGID_Z_EN: 1
; COMPUTE_PGM_RSRC2:TIDIG_COMP_CNT: 0
	.section	.text._ZL32rocblas_iamax_iamin_kernel_part1ILi1024E23rocblas_fetch_amax_aminIfE19rocblas_reduce_aminPKf21rocblas_index_value_tIfEEviiT2_liliPT3_,"axG",@progbits,_ZL32rocblas_iamax_iamin_kernel_part1ILi1024E23rocblas_fetch_amax_aminIfE19rocblas_reduce_aminPKf21rocblas_index_value_tIfEEviiT2_liliPT3_,comdat
	.globl	_ZL32rocblas_iamax_iamin_kernel_part1ILi1024E23rocblas_fetch_amax_aminIfE19rocblas_reduce_aminPKf21rocblas_index_value_tIfEEviiT2_liliPT3_ ; -- Begin function _ZL32rocblas_iamax_iamin_kernel_part1ILi1024E23rocblas_fetch_amax_aminIfE19rocblas_reduce_aminPKf21rocblas_index_value_tIfEEviiT2_liliPT3_
	.p2align	8
	.type	_ZL32rocblas_iamax_iamin_kernel_part1ILi1024E23rocblas_fetch_amax_aminIfE19rocblas_reduce_aminPKf21rocblas_index_value_tIfEEviiT2_liliPT3_,@function
_ZL32rocblas_iamax_iamin_kernel_part1ILi1024E23rocblas_fetch_amax_aminIfE19rocblas_reduce_aminPKf21rocblas_index_value_tIfEEviiT2_liliPT3_: ; @_ZL32rocblas_iamax_iamin_kernel_part1ILi1024E23rocblas_fetch_amax_aminIfE19rocblas_reduce_aminPKf21rocblas_index_value_tIfEEviiT2_liliPT3_
; %bb.0:
	s_load_b32 s14, s[0:1], 0x28
	s_bfe_u32 s2, ttmp6, 0x40014
	s_lshr_b32 s3, ttmp7, 16
	s_add_co_i32 s2, s2, 1
	s_bfe_u32 s5, ttmp6, 0x40008
	s_mul_i32 s4, s3, s2
	s_getreg_b32 s2, hwreg(HW_REG_IB_STS2, 6, 4)
	s_add_co_i32 s5, s5, s4
	s_cmp_eq_u32 s2, 0
	s_mov_b32 s9, 0
	s_cselect_b32 s8, s3, s5
	s_wait_kmcnt 0x0
	s_cmp_ge_u32 s8, s14
	s_cbranch_scc1 .LBB10_47
; %bb.1:
	s_clause 0x1
	s_load_b32 s16, s[0:1], 0x18
	s_load_b128 s[4:7], s[0:1], 0x8
	s_bfe_u32 s3, ttmp6, 0x4000c
	s_and_b32 s15, ttmp6, 15
	s_add_co_i32 s3, s3, 1
	v_dual_mov_b32 v3, 0 :: v_dual_bitop2_b32 v8, 31, v0 bitop3:0x40
	s_mul_i32 s3, ttmp9, s3
	v_mbcnt_lo_u32_b32 v11, -1, 0
	s_add_co_i32 s15, s15, s3
	s_clause 0x1
	s_load_b64 s[10:11], s[0:1], 0x20
	s_load_b64 s[12:13], s[0:1], 0x30
	v_cmp_gt_u32_e32 vcc_lo, 32, v0
	v_lshl_or_b32 v7, v11, 2, 64
	s_wait_kmcnt 0x0
	s_ashr_i32 s17, s16, 31
	s_lshl_b64 s[6:7], s[6:7], 2
	s_cmp_eq_u32 s2, 0
	s_load_b64 s[2:3], s[0:1], 0x0
	s_cselect_b32 s15, ttmp9, s15
	s_wait_xcnt 0x0
	v_cmp_gt_u32_e64 s1, 24, v11
	v_lshl_or_b32 v2, s15, 10, v0
	v_cmp_eq_u32_e64 s0, 0, v0
	s_add_nc_u64 s[4:5], s[4:5], s[6:7]
	v_lshlrev_b32_e32 v6, 3, v8
	v_cndmask_b32_e64 v10, 0, 8, s1
	v_mul_u64_e32 v[4:5], s[16:17], v[2:3]
	v_cmp_gt_u32_e64 s1, 28, v11
	s_delay_alu instid0(VALU_DEP_1) | instskip(SKIP_1) | instid1(VALU_DEP_1)
	v_cndmask_b32_e64 v12, 0, 4, s1
	v_cmp_gt_u32_e64 s1, 30, v11
	v_cndmask_b32_e64 v13, 0, 2, s1
	v_cmp_ne_u32_e64 s1, 31, v11
	s_wait_kmcnt 0x0
	s_mov_b32 s16, s2
	s_ashr_i32 s17, s2, 31
	s_lshl_b32 s7, s3, 16
	v_cmp_gt_i64_e64 s2, s[16:17], v[2:3]
	v_add_co_ci_u32_e64 v14, null, 0, v11, s1
	v_lshrrev_b32_e32 v9, 2, v0
	v_mov_b64_e32 v[0:1], 0
	v_cmp_eq_u32_e64 s1, 0, v8
	s_delay_alu instid0(VALU_DEP_3)
	v_and_b32_e32 v8, 0xf8, v9
	v_add_lshl_u32 v9, v10, v11, 2
	v_add_lshl_u32 v10, v12, v11, 2
	;; [unrolled: 1-line block ×3, first 2 shown]
	v_lshlrev_b32_e32 v12, 2, v14
	v_add_nc_u32_e32 v13, 1, v2
	v_lshl_add_u64 v[2:3], v[4:5], 2, s[4:5]
	s_mul_i32 s4, s8, s3
	s_delay_alu instid0(SALU_CYCLE_1)
	s_add_co_i32 s6, s15, s4
	s_branch .LBB10_3
.LBB10_2:                               ;   in Loop: Header=BB10_3 Depth=1
	s_wait_xcnt 0x0
	s_or_b32 exec_lo, exec_lo, s3
	s_add_co_i32 s8, s8, 0x10000
	s_add_co_i32 s6, s6, s7
	s_cmp_lt_u32 s8, s14
	s_cbranch_scc0 .LBB10_47
.LBB10_3:                               ; =>This Inner Loop Header: Depth=1
	s_wait_dscnt 0x0
	v_mov_b32_e32 v4, 0
	s_and_saveexec_b32 s4, s2
	s_cbranch_execz .LBB10_5
; %bb.4:                                ;   in Loop: Header=BB10_3 Depth=1
	s_mul_u64 s[16:17], s[10:11], s[8:9]
	s_delay_alu instid0(SALU_CYCLE_1) | instskip(SKIP_4) | instid1(VALU_DEP_1)
	v_lshl_add_u64 v[4:5], s[16:17], 2, v[2:3]
	global_load_b32 v4, v[4:5], off
	s_wait_loadcnt 0x0
	v_cmp_gt_f32_e64 s3, 0, v4
	s_wait_xcnt 0x0
	v_dual_cndmask_b32 v5, v4, -v4, s3 :: v_dual_mov_b32 v4, v13
.LBB10_5:                               ;   in Loop: Header=BB10_3 Depth=1
	s_or_b32 exec_lo, exec_lo, s4
	s_and_saveexec_b32 s3, vcc_lo
; %bb.6:                                ;   in Loop: Header=BB10_3 Depth=1
	ds_store_b64 v6, v[0:1]
; %bb.7:                                ;   in Loop: Header=BB10_3 Depth=1
	s_or_b32 exec_lo, exec_lo, s3
	ds_bpermute_b32 v14, v7, v4
	ds_bpermute_b32 v15, v7, v5
	s_mov_b32 s15, exec_lo
	s_wait_dscnt 0x0
	s_barrier_signal -1
	s_barrier_wait -1
	v_cmpx_ne_u32_e32 0, v14
; %bb.8:                                ;   in Loop: Header=BB10_3 Depth=1
	v_cmp_eq_u32_e64 s3, 0, v4
	v_cmp_gt_f32_e64 s4, v5, v15
	v_cmp_eq_f32_e64 s5, v5, v15
	s_or_b32 s3, s3, s4
	s_delay_alu instid0(SALU_CYCLE_1) | instskip(NEXT) | instid1(VALU_DEP_1)
	v_dual_cndmask_b32 v5, v5, v15, s3 :: v_dual_min_i32 v16, v14, v4
	v_cndmask_b32_e64 v4, v4, v16, s5
	s_delay_alu instid0(VALU_DEP_1)
	v_cndmask_b32_e64 v4, v4, v14, s3
; %bb.9:                                ;   in Loop: Header=BB10_3 Depth=1
	s_or_b32 exec_lo, exec_lo, s15
	ds_bpermute_b32 v15, v9, v4
	ds_bpermute_b32 v16, v9, v5
	v_mov_b32_e32 v14, v5
	s_mov_b32 s5, exec_lo
	s_wait_dscnt 0x1
	v_cmpx_ne_u32_e32 0, v15
	s_cbranch_execz .LBB10_13
; %bb.10:                               ;   in Loop: Header=BB10_3 Depth=1
	v_cmp_ne_u32_e64 s3, 0, v4
	s_wait_dscnt 0x0
	v_cmp_ngt_f32_e64 s4, v5, v16
	s_and_b32 s3, s3, s4
	s_delay_alu instid0(SALU_CYCLE_1)
	s_and_saveexec_b32 s4, s3
; %bb.11:                               ;   in Loop: Header=BB10_3 Depth=1
	v_min_i32_e32 v14, v15, v4
	v_cmp_eq_f32_e64 s3, v5, v16
	s_delay_alu instid0(VALU_DEP_1)
	v_dual_mov_b32 v16, v5 :: v_dual_cndmask_b32 v15, v4, v14, s3
; %bb.12:                               ;   in Loop: Header=BB10_3 Depth=1
	s_or_b32 exec_lo, exec_lo, s4
	s_delay_alu instid0(VALU_DEP_1)
	v_dual_mov_b32 v5, v16 :: v_dual_mov_b32 v4, v15
	v_mov_b32_e32 v14, v16
.LBB10_13:                              ;   in Loop: Header=BB10_3 Depth=1
	s_or_b32 exec_lo, exec_lo, s5
	ds_bpermute_b32 v15, v10, v4
	s_wait_dscnt 0x1
	ds_bpermute_b32 v16, v10, v5
	s_mov_b32 s5, exec_lo
	s_wait_dscnt 0x1
	v_cmpx_ne_u32_e32 0, v15
	s_cbranch_execz .LBB10_17
; %bb.14:                               ;   in Loop: Header=BB10_3 Depth=1
	v_cmp_ne_u32_e64 s3, 0, v4
	s_wait_dscnt 0x0
	v_cmp_ngt_f32_e64 s4, v14, v16
	v_mov_b32_e32 v17, v16
	s_and_b32 s3, s3, s4
	s_delay_alu instid0(SALU_CYCLE_1)
	s_and_saveexec_b32 s4, s3
; %bb.15:                               ;   in Loop: Header=BB10_3 Depth=1
	v_dual_mov_b32 v17, v14 :: v_dual_min_i32 v15, v15, v4
	v_cmp_eq_f32_e64 s3, v14, v16
	s_delay_alu instid0(VALU_DEP_1)
	v_dual_mov_b32 v16, v5 :: v_dual_cndmask_b32 v15, v4, v15, s3
; %bb.16:                               ;   in Loop: Header=BB10_3 Depth=1
	s_or_b32 exec_lo, exec_lo, s4
	s_delay_alu instid0(VALU_DEP_1)
	v_dual_mov_b32 v5, v16 :: v_dual_mov_b32 v4, v15
	v_mov_b32_e32 v14, v17
.LBB10_17:                              ;   in Loop: Header=BB10_3 Depth=1
	s_or_b32 exec_lo, exec_lo, s5
	ds_bpermute_b32 v15, v11, v4
	s_wait_dscnt 0x1
	ds_bpermute_b32 v16, v11, v5
	s_mov_b32 s5, exec_lo
	s_wait_dscnt 0x1
	v_cmpx_ne_u32_e32 0, v15
	s_cbranch_execz .LBB10_21
; %bb.18:                               ;   in Loop: Header=BB10_3 Depth=1
	v_cmp_ne_u32_e64 s3, 0, v4
	s_wait_dscnt 0x0
	v_cmp_ngt_f32_e64 s4, v14, v16
	v_mov_b32_e32 v17, v16
	s_and_b32 s3, s3, s4
	s_delay_alu instid0(SALU_CYCLE_1)
	s_and_saveexec_b32 s4, s3
; %bb.19:                               ;   in Loop: Header=BB10_3 Depth=1
	v_dual_mov_b32 v17, v14 :: v_dual_min_i32 v15, v15, v4
	v_cmp_eq_f32_e64 s3, v14, v16
	s_delay_alu instid0(VALU_DEP_1)
	v_dual_mov_b32 v16, v5 :: v_dual_cndmask_b32 v15, v4, v15, s3
; %bb.20:                               ;   in Loop: Header=BB10_3 Depth=1
	s_or_b32 exec_lo, exec_lo, s4
	s_delay_alu instid0(VALU_DEP_1)
	v_dual_mov_b32 v5, v16 :: v_dual_mov_b32 v4, v15
	v_mov_b32_e32 v14, v17
.LBB10_21:                              ;   in Loop: Header=BB10_3 Depth=1
	s_or_b32 exec_lo, exec_lo, s5
	ds_bpermute_b32 v15, v12, v4
	s_wait_dscnt 0x1
	ds_bpermute_b32 v16, v12, v5
	s_mov_b32 s15, exec_lo
	s_wait_dscnt 0x1
	v_cmpx_ne_u32_e32 0, v15
	s_cbranch_execz .LBB10_23
; %bb.22:                               ;   in Loop: Header=BB10_3 Depth=1
	v_cmp_eq_u32_e64 s3, 0, v4
	s_wait_dscnt 0x0
	v_cmp_gt_f32_e64 s4, v14, v16
	v_cmp_eq_f32_e64 s5, v14, v16
	s_or_b32 s3, s3, s4
	v_min_i32_e32 v17, v15, v4
	s_delay_alu instid0(VALU_DEP_1) | instskip(NEXT) | instid1(VALU_DEP_1)
	v_dual_cndmask_b32 v5, v5, v16, s3 :: v_dual_cndmask_b32 v4, v4, v17, s5
	v_cndmask_b32_e64 v4, v4, v15, s3
.LBB10_23:                              ;   in Loop: Header=BB10_3 Depth=1
	s_or_b32 exec_lo, exec_lo, s15
	s_and_saveexec_b32 s3, s1
; %bb.24:                               ;   in Loop: Header=BB10_3 Depth=1
	ds_store_b64 v8, v[4:5]
; %bb.25:                               ;   in Loop: Header=BB10_3 Depth=1
	s_or_b32 exec_lo, exec_lo, s3
	v_dual_mov_b32 v4, 0 :: v_dual_mov_b32 v5, 0
	s_wait_dscnt 0x0
	s_barrier_signal -1
	s_barrier_wait -1
	s_and_saveexec_b32 s3, vcc_lo
	s_cbranch_execnz .LBB10_28
; %bb.26:                               ;   in Loop: Header=BB10_3 Depth=1
	s_or_b32 exec_lo, exec_lo, s3
	s_and_saveexec_b32 s15, vcc_lo
	s_cbranch_execnz .LBB10_29
.LBB10_27:                              ;   in Loop: Header=BB10_3 Depth=1
	s_or_b32 exec_lo, exec_lo, s15
	s_and_saveexec_b32 s3, s0
	s_cbranch_execz .LBB10_2
	s_branch .LBB10_46
.LBB10_28:                              ;   in Loop: Header=BB10_3 Depth=1
	ds_load_b64 v[4:5], v6
	s_or_b32 exec_lo, exec_lo, s3
	s_and_saveexec_b32 s15, vcc_lo
	s_cbranch_execz .LBB10_27
.LBB10_29:                              ;   in Loop: Header=BB10_3 Depth=1
	s_wait_dscnt 0x0
	ds_bpermute_b32 v14, v7, v4
	ds_bpermute_b32 v15, v7, v5
	s_mov_b32 s16, exec_lo
	s_wait_dscnt 0x1
	v_cmpx_ne_u32_e32 0, v14
	s_cbranch_execz .LBB10_31
; %bb.30:                               ;   in Loop: Header=BB10_3 Depth=1
	v_cmp_eq_u32_e64 s3, 0, v4
	s_wait_dscnt 0x0
	v_cmp_gt_f32_e64 s4, v5, v15
	v_cmp_eq_f32_e64 s5, v5, v15
	s_or_b32 s3, s3, s4
	s_delay_alu instid0(SALU_CYCLE_1) | instskip(NEXT) | instid1(VALU_DEP_1)
	v_dual_cndmask_b32 v5, v5, v15, s3 :: v_dual_min_i32 v16, v14, v4
	v_cndmask_b32_e64 v4, v4, v16, s5
	s_delay_alu instid0(VALU_DEP_1)
	v_cndmask_b32_e64 v4, v4, v14, s3
.LBB10_31:                              ;   in Loop: Header=BB10_3 Depth=1
	s_or_b32 exec_lo, exec_lo, s16
	s_wait_dscnt 0x0
	ds_bpermute_b32 v15, v9, v4
	ds_bpermute_b32 v16, v9, v5
	v_mov_b32_e32 v14, v5
	s_mov_b32 s5, exec_lo
	s_wait_dscnt 0x1
	v_cmpx_ne_u32_e32 0, v15
	s_cbranch_execz .LBB10_35
; %bb.32:                               ;   in Loop: Header=BB10_3 Depth=1
	v_cmp_ne_u32_e64 s3, 0, v4
	s_wait_dscnt 0x0
	v_cmp_ngt_f32_e64 s4, v5, v16
	s_and_b32 s3, s3, s4
	s_delay_alu instid0(SALU_CYCLE_1)
	s_and_saveexec_b32 s4, s3
; %bb.33:                               ;   in Loop: Header=BB10_3 Depth=1
	v_min_i32_e32 v14, v15, v4
	v_cmp_eq_f32_e64 s3, v5, v16
	s_delay_alu instid0(VALU_DEP_1)
	v_dual_mov_b32 v16, v5 :: v_dual_cndmask_b32 v15, v4, v14, s3
; %bb.34:                               ;   in Loop: Header=BB10_3 Depth=1
	s_or_b32 exec_lo, exec_lo, s4
	s_delay_alu instid0(VALU_DEP_1)
	v_dual_mov_b32 v5, v16 :: v_dual_mov_b32 v4, v15
	v_mov_b32_e32 v14, v16
.LBB10_35:                              ;   in Loop: Header=BB10_3 Depth=1
	s_or_b32 exec_lo, exec_lo, s5
	ds_bpermute_b32 v15, v10, v4
	s_wait_dscnt 0x1
	ds_bpermute_b32 v16, v10, v5
	s_mov_b32 s5, exec_lo
	s_wait_dscnt 0x1
	v_cmpx_ne_u32_e32 0, v15
	s_cbranch_execz .LBB10_39
; %bb.36:                               ;   in Loop: Header=BB10_3 Depth=1
	v_cmp_ne_u32_e64 s3, 0, v4
	s_wait_dscnt 0x0
	v_cmp_ngt_f32_e64 s4, v14, v16
	v_mov_b32_e32 v17, v16
	s_and_b32 s3, s3, s4
	s_delay_alu instid0(SALU_CYCLE_1)
	s_and_saveexec_b32 s4, s3
; %bb.37:                               ;   in Loop: Header=BB10_3 Depth=1
	v_dual_mov_b32 v17, v14 :: v_dual_min_i32 v15, v15, v4
	v_cmp_eq_f32_e64 s3, v14, v16
	s_delay_alu instid0(VALU_DEP_1)
	v_dual_mov_b32 v16, v5 :: v_dual_cndmask_b32 v15, v4, v15, s3
; %bb.38:                               ;   in Loop: Header=BB10_3 Depth=1
	s_or_b32 exec_lo, exec_lo, s4
	s_delay_alu instid0(VALU_DEP_1)
	v_dual_mov_b32 v5, v16 :: v_dual_mov_b32 v4, v15
	v_mov_b32_e32 v14, v17
.LBB10_39:                              ;   in Loop: Header=BB10_3 Depth=1
	s_or_b32 exec_lo, exec_lo, s5
	ds_bpermute_b32 v15, v11, v4
	s_wait_dscnt 0x1
	ds_bpermute_b32 v16, v11, v5
	s_mov_b32 s5, exec_lo
	s_wait_dscnt 0x1
	v_cmpx_ne_u32_e32 0, v15
	s_cbranch_execz .LBB10_43
; %bb.40:                               ;   in Loop: Header=BB10_3 Depth=1
	v_cmp_ne_u32_e64 s3, 0, v4
	s_wait_dscnt 0x0
	v_cmp_ngt_f32_e64 s4, v14, v16
	v_mov_b32_e32 v17, v16
	s_and_b32 s3, s3, s4
	s_delay_alu instid0(SALU_CYCLE_1)
	s_and_saveexec_b32 s4, s3
; %bb.41:                               ;   in Loop: Header=BB10_3 Depth=1
	v_dual_mov_b32 v17, v14 :: v_dual_min_i32 v15, v15, v4
	v_cmp_eq_f32_e64 s3, v14, v16
	s_delay_alu instid0(VALU_DEP_1)
	v_dual_mov_b32 v16, v5 :: v_dual_cndmask_b32 v15, v4, v15, s3
; %bb.42:                               ;   in Loop: Header=BB10_3 Depth=1
	s_or_b32 exec_lo, exec_lo, s4
	s_delay_alu instid0(VALU_DEP_1)
	v_dual_mov_b32 v5, v16 :: v_dual_mov_b32 v4, v15
	v_mov_b32_e32 v14, v17
.LBB10_43:                              ;   in Loop: Header=BB10_3 Depth=1
	s_or_b32 exec_lo, exec_lo, s5
	ds_bpermute_b32 v15, v12, v4
	s_wait_dscnt 0x1
	ds_bpermute_b32 v16, v12, v5
	s_mov_b32 s16, exec_lo
	s_wait_dscnt 0x1
	v_cmpx_ne_u32_e32 0, v15
	s_cbranch_execz .LBB10_45
; %bb.44:                               ;   in Loop: Header=BB10_3 Depth=1
	v_cmp_eq_u32_e64 s3, 0, v4
	s_wait_dscnt 0x0
	v_cmp_gt_f32_e64 s4, v14, v16
	v_cmp_eq_f32_e64 s5, v14, v16
	s_or_b32 s3, s3, s4
	v_min_i32_e32 v17, v15, v4
	s_delay_alu instid0(VALU_DEP_1) | instskip(NEXT) | instid1(VALU_DEP_1)
	v_dual_cndmask_b32 v5, v5, v16, s3 :: v_dual_cndmask_b32 v4, v4, v17, s5
	v_cndmask_b32_e64 v4, v4, v15, s3
.LBB10_45:                              ;   in Loop: Header=BB10_3 Depth=1
	s_or_b32 exec_lo, exec_lo, s16
	s_delay_alu instid0(SALU_CYCLE_1)
	s_or_b32 exec_lo, exec_lo, s15
	s_and_saveexec_b32 s3, s0
	s_cbranch_execz .LBB10_2
.LBB10_46:                              ;   in Loop: Header=BB10_3 Depth=1
	v_mov_b32_e32 v14, s6
	s_wait_dscnt 0x0
	global_store_b64 v14, v[4:5], s[12:13] scale_offset
	s_branch .LBB10_2
.LBB10_47:
	s_endpgm
	.section	.rodata,"a",@progbits
	.p2align	6, 0x0
	.amdhsa_kernel _ZL32rocblas_iamax_iamin_kernel_part1ILi1024E23rocblas_fetch_amax_aminIfE19rocblas_reduce_aminPKf21rocblas_index_value_tIfEEviiT2_liliPT3_
		.amdhsa_group_segment_fixed_size 256
		.amdhsa_private_segment_fixed_size 0
		.amdhsa_kernarg_size 56
		.amdhsa_user_sgpr_count 2
		.amdhsa_user_sgpr_dispatch_ptr 0
		.amdhsa_user_sgpr_queue_ptr 0
		.amdhsa_user_sgpr_kernarg_segment_ptr 1
		.amdhsa_user_sgpr_dispatch_id 0
		.amdhsa_user_sgpr_kernarg_preload_length 0
		.amdhsa_user_sgpr_kernarg_preload_offset 0
		.amdhsa_user_sgpr_private_segment_size 0
		.amdhsa_wavefront_size32 1
		.amdhsa_uses_dynamic_stack 0
		.amdhsa_enable_private_segment 0
		.amdhsa_system_sgpr_workgroup_id_x 1
		.amdhsa_system_sgpr_workgroup_id_y 0
		.amdhsa_system_sgpr_workgroup_id_z 1
		.amdhsa_system_sgpr_workgroup_info 0
		.amdhsa_system_vgpr_workitem_id 0
		.amdhsa_next_free_vgpr 18
		.amdhsa_next_free_sgpr 18
		.amdhsa_named_barrier_count 0
		.amdhsa_reserve_vcc 1
		.amdhsa_float_round_mode_32 0
		.amdhsa_float_round_mode_16_64 0
		.amdhsa_float_denorm_mode_32 3
		.amdhsa_float_denorm_mode_16_64 3
		.amdhsa_fp16_overflow 0
		.amdhsa_memory_ordered 1
		.amdhsa_forward_progress 1
		.amdhsa_inst_pref_size 15
		.amdhsa_round_robin_scheduling 0
		.amdhsa_exception_fp_ieee_invalid_op 0
		.amdhsa_exception_fp_denorm_src 0
		.amdhsa_exception_fp_ieee_div_zero 0
		.amdhsa_exception_fp_ieee_overflow 0
		.amdhsa_exception_fp_ieee_underflow 0
		.amdhsa_exception_fp_ieee_inexact 0
		.amdhsa_exception_int_div_zero 0
	.end_amdhsa_kernel
	.section	.text._ZL32rocblas_iamax_iamin_kernel_part1ILi1024E23rocblas_fetch_amax_aminIfE19rocblas_reduce_aminPKf21rocblas_index_value_tIfEEviiT2_liliPT3_,"axG",@progbits,_ZL32rocblas_iamax_iamin_kernel_part1ILi1024E23rocblas_fetch_amax_aminIfE19rocblas_reduce_aminPKf21rocblas_index_value_tIfEEviiT2_liliPT3_,comdat
.Lfunc_end10:
	.size	_ZL32rocblas_iamax_iamin_kernel_part1ILi1024E23rocblas_fetch_amax_aminIfE19rocblas_reduce_aminPKf21rocblas_index_value_tIfEEviiT2_liliPT3_, .Lfunc_end10-_ZL32rocblas_iamax_iamin_kernel_part1ILi1024E23rocblas_fetch_amax_aminIfE19rocblas_reduce_aminPKf21rocblas_index_value_tIfEEviiT2_liliPT3_
                                        ; -- End function
	.set _ZL32rocblas_iamax_iamin_kernel_part1ILi1024E23rocblas_fetch_amax_aminIfE19rocblas_reduce_aminPKf21rocblas_index_value_tIfEEviiT2_liliPT3_.num_vgpr, 18
	.set _ZL32rocblas_iamax_iamin_kernel_part1ILi1024E23rocblas_fetch_amax_aminIfE19rocblas_reduce_aminPKf21rocblas_index_value_tIfEEviiT2_liliPT3_.num_agpr, 0
	.set _ZL32rocblas_iamax_iamin_kernel_part1ILi1024E23rocblas_fetch_amax_aminIfE19rocblas_reduce_aminPKf21rocblas_index_value_tIfEEviiT2_liliPT3_.numbered_sgpr, 18
	.set _ZL32rocblas_iamax_iamin_kernel_part1ILi1024E23rocblas_fetch_amax_aminIfE19rocblas_reduce_aminPKf21rocblas_index_value_tIfEEviiT2_liliPT3_.num_named_barrier, 0
	.set _ZL32rocblas_iamax_iamin_kernel_part1ILi1024E23rocblas_fetch_amax_aminIfE19rocblas_reduce_aminPKf21rocblas_index_value_tIfEEviiT2_liliPT3_.private_seg_size, 0
	.set _ZL32rocblas_iamax_iamin_kernel_part1ILi1024E23rocblas_fetch_amax_aminIfE19rocblas_reduce_aminPKf21rocblas_index_value_tIfEEviiT2_liliPT3_.uses_vcc, 1
	.set _ZL32rocblas_iamax_iamin_kernel_part1ILi1024E23rocblas_fetch_amax_aminIfE19rocblas_reduce_aminPKf21rocblas_index_value_tIfEEviiT2_liliPT3_.uses_flat_scratch, 0
	.set _ZL32rocblas_iamax_iamin_kernel_part1ILi1024E23rocblas_fetch_amax_aminIfE19rocblas_reduce_aminPKf21rocblas_index_value_tIfEEviiT2_liliPT3_.has_dyn_sized_stack, 0
	.set _ZL32rocblas_iamax_iamin_kernel_part1ILi1024E23rocblas_fetch_amax_aminIfE19rocblas_reduce_aminPKf21rocblas_index_value_tIfEEviiT2_liliPT3_.has_recursion, 0
	.set _ZL32rocblas_iamax_iamin_kernel_part1ILi1024E23rocblas_fetch_amax_aminIfE19rocblas_reduce_aminPKf21rocblas_index_value_tIfEEviiT2_liliPT3_.has_indirect_call, 0
	.section	.AMDGPU.csdata,"",@progbits
; Kernel info:
; codeLenInByte = 1840
; TotalNumSgprs: 20
; NumVgprs: 18
; ScratchSize: 0
; MemoryBound: 0
; FloatMode: 240
; IeeeMode: 1
; LDSByteSize: 256 bytes/workgroup (compile time only)
; SGPRBlocks: 0
; VGPRBlocks: 1
; NumSGPRsForWavesPerEU: 20
; NumVGPRsForWavesPerEU: 18
; NamedBarCnt: 0
; Occupancy: 16
; WaveLimiterHint : 0
; COMPUTE_PGM_RSRC2:SCRATCH_EN: 0
; COMPUTE_PGM_RSRC2:USER_SGPR: 2
; COMPUTE_PGM_RSRC2:TRAP_HANDLER: 0
; COMPUTE_PGM_RSRC2:TGID_X_EN: 1
; COMPUTE_PGM_RSRC2:TGID_Y_EN: 0
; COMPUTE_PGM_RSRC2:TGID_Z_EN: 1
; COMPUTE_PGM_RSRC2:TIDIG_COMP_CNT: 0
	.section	.text._ZL32rocblas_iamax_iamin_kernel_part2ILi1024E19rocblas_reduce_amin21rocblas_index_value_tIfEiEviPT1_PT2_,"axG",@progbits,_ZL32rocblas_iamax_iamin_kernel_part2ILi1024E19rocblas_reduce_amin21rocblas_index_value_tIfEiEviPT1_PT2_,comdat
	.globl	_ZL32rocblas_iamax_iamin_kernel_part2ILi1024E19rocblas_reduce_amin21rocblas_index_value_tIfEiEviPT1_PT2_ ; -- Begin function _ZL32rocblas_iamax_iamin_kernel_part2ILi1024E19rocblas_reduce_amin21rocblas_index_value_tIfEiEviPT1_PT2_
	.p2align	8
	.type	_ZL32rocblas_iamax_iamin_kernel_part2ILi1024E19rocblas_reduce_amin21rocblas_index_value_tIfEiEviPT1_PT2_,@function
_ZL32rocblas_iamax_iamin_kernel_part2ILi1024E19rocblas_reduce_amin21rocblas_index_value_tIfEiEviPT1_PT2_: ; @_ZL32rocblas_iamax_iamin_kernel_part2ILi1024E19rocblas_reduce_amin21rocblas_index_value_tIfEiEviPT1_PT2_
; %bb.0:
	s_clause 0x1
	s_load_b32 s10, s[0:1], 0x0
	s_load_b128 s[4:7], s[0:1], 0x8
	v_mov_b32_e32 v2, 0
	s_getreg_b32 s8, hwreg(HW_REG_IB_STS2, 6, 4)
	s_mov_b32 s9, exec_lo
	s_wait_kmcnt 0x0
	v_cmpx_gt_i32_e64 s10, v0
	s_cbranch_execz .LBB11_10
; %bb.1:
	s_bfe_u32 s0, ttmp6, 0x4000c
	s_and_b32 s1, ttmp6, 15
	s_add_co_i32 s0, s0, 1
	v_or_b32_e32 v1, 0x400, v0
	s_mul_i32 s0, ttmp9, s0
	s_delay_alu instid0(SALU_CYCLE_1) | instskip(SKIP_4) | instid1(SALU_CYCLE_1)
	s_add_co_i32 s1, s1, s0
	s_cmp_eq_u32 s8, 0
	s_cselect_b32 s0, ttmp9, s1
	s_mov_b32 s1, 0
	s_mul_i32 s0, s10, s0
	s_lshl_b64 s[2:3], s[0:1], 3
	s_delay_alu instid0(SALU_CYCLE_1)
	s_add_nc_u64 s[2:3], s[4:5], s[2:3]
	s_mov_b32 s4, exec_lo
	global_load_b64 v[2:3], v0, s[2:3] scale_offset
	s_wait_xcnt 0x0
	v_cmpx_gt_u32_e64 s10, v1
	s_cbranch_execz .LBB11_9
; %bb.2:
	v_dual_mov_b32 v5, 0 :: v_dual_lshlrev_b32 v4, 3, v0
	s_delay_alu instid0(VALU_DEP_1) | instskip(NEXT) | instid1(VALU_DEP_1)
	v_add_nc_u64_e32 v[4:5], s[2:3], v[4:5]
	v_add_nc_u64_e32 v[4:5], 0x2000, v[4:5]
	s_branch .LBB11_5
.LBB11_3:                               ;   in Loop: Header=BB11_5 Depth=1
	s_or_b32 exec_lo, exec_lo, s0
	s_delay_alu instid0(VALU_DEP_1)
	v_dual_mov_b32 v2, v6 :: v_dual_mov_b32 v3, v7
.LBB11_4:                               ;   in Loop: Header=BB11_5 Depth=1
	s_or_b32 exec_lo, exec_lo, s2
	v_add_nc_u32_e32 v1, 0x400, v1
	v_add_nc_u64_e32 v[4:5], 0x2000, v[4:5]
	s_delay_alu instid0(VALU_DEP_2) | instskip(SKIP_1) | instid1(SALU_CYCLE_1)
	v_cmp_le_i32_e32 vcc_lo, s10, v1
	s_or_b32 s1, vcc_lo, s1
	s_and_not1_b32 exec_lo, exec_lo, s1
	s_cbranch_execz .LBB11_8
.LBB11_5:                               ; =>This Inner Loop Header: Depth=1
	global_load_b32 v6, v[4:5], off
	s_mov_b32 s2, exec_lo
	s_wait_loadcnt 0x0
	v_cmpx_ne_u32_e32 0, v6
	s_cbranch_execz .LBB11_4
; %bb.6:                                ;   in Loop: Header=BB11_5 Depth=1
	global_load_b32 v7, v[4:5], off offset:4
	v_cmp_ne_u32_e32 vcc_lo, 0, v2
	s_wait_loadcnt 0x0
	v_cmp_nlt_f32_e64 s0, v7, v3
	s_and_b32 s3, vcc_lo, s0
	s_delay_alu instid0(SALU_CYCLE_1)
	s_and_saveexec_b32 s0, s3
	s_cbranch_execz .LBB11_3
; %bb.7:                                ;   in Loop: Header=BB11_5 Depth=1
	v_min_i32_e32 v6, v6, v2
	v_cmp_eq_f32_e32 vcc_lo, v3, v7
	s_delay_alu instid0(VALU_DEP_2)
	v_dual_mov_b32 v7, v3 :: v_dual_cndmask_b32 v6, v2, v6
	s_branch .LBB11_3
.LBB11_8:
	s_or_b32 exec_lo, exec_lo, s1
.LBB11_9:
	s_delay_alu instid0(SALU_CYCLE_1)
	s_or_b32 exec_lo, exec_lo, s4
.LBB11_10:
	s_delay_alu instid0(SALU_CYCLE_1) | instskip(SKIP_2) | instid1(VALU_DEP_2)
	s_or_b32 exec_lo, exec_lo, s9
	v_and_b32_e32 v9, 31, v0
	v_cmp_gt_u32_e32 vcc_lo, 32, v0
	v_lshlrev_b32_e32 v4, 3, v9
	s_and_saveexec_b32 s0, vcc_lo
; %bb.11:
	v_mov_b64_e32 v[6:7], 0
	ds_store_b64 v4, v[6:7]
; %bb.12:
	s_or_b32 exec_lo, exec_lo, s0
	v_mbcnt_lo_u32_b32 v8, -1, 0
	s_wait_loadcnt 0x0
	v_mov_b32_e32 v10, v3
	s_mov_b32 s3, exec_lo
	s_wait_dscnt 0x0
	s_barrier_signal -1
	v_lshl_or_b32 v1, v8, 2, 64
	s_barrier_wait -1
	ds_bpermute_b32 v5, v1, v2
	ds_bpermute_b32 v6, v1, v3
	s_wait_dscnt 0x1
	v_cmpx_ne_u32_e32 0, v5
	s_cbranch_execz .LBB11_14
; %bb.13:
	v_cmp_eq_u32_e64 s0, 0, v2
	s_wait_dscnt 0x0
	v_cmp_gt_f32_e64 s1, v3, v6
	v_cmp_eq_f32_e64 s2, v3, v6
	s_or_b32 s0, s0, s1
	v_min_i32_e32 v7, v5, v2
	s_delay_alu instid0(VALU_DEP_1) | instskip(NEXT) | instid1(VALU_DEP_1)
	v_dual_cndmask_b32 v3, v3, v6, s0 :: v_dual_cndmask_b32 v2, v2, v7, s2
	v_dual_mov_b32 v10, v3 :: v_dual_cndmask_b32 v2, v2, v5, s0
.LBB11_14:
	s_or_b32 exec_lo, exec_lo, s3
	v_cmp_gt_u32_e64 s0, 24, v8
	s_mov_b32 s2, exec_lo
	v_cndmask_b32_e64 v5, 0, 8, s0
	s_delay_alu instid0(VALU_DEP_1)
	v_add_lshl_u32 v5, v5, v8, 2
	s_wait_dscnt 0x0
	ds_bpermute_b32 v6, v5, v2
	ds_bpermute_b32 v7, v5, v3
	s_wait_dscnt 0x1
	v_cmpx_ne_u32_e32 0, v6
	s_cbranch_execz .LBB11_18
; %bb.15:
	v_cmp_ne_u32_e64 s0, 0, v2
	s_wait_dscnt 0x0
	v_cmp_ngt_f32_e64 s1, v10, v7
	v_mov_b32_e32 v11, v7
	s_and_b32 s0, s0, s1
	s_delay_alu instid0(SALU_CYCLE_1)
	s_and_saveexec_b32 s1, s0
; %bb.16:
	v_min_i32_e32 v6, v6, v2
	v_cmp_eq_f32_e64 s0, v10, v7
	v_dual_mov_b32 v11, v10 :: v_dual_mov_b32 v7, v3
	s_delay_alu instid0(VALU_DEP_2)
	v_cndmask_b32_e64 v6, v2, v6, s0
; %bb.17:
	s_or_b32 exec_lo, exec_lo, s1
	s_delay_alu instid0(VALU_DEP_1) | instskip(NEXT) | instid1(VALU_DEP_3)
	v_dual_mov_b32 v3, v7 :: v_dual_mov_b32 v2, v6
	v_mov_b32_e32 v10, v11
.LBB11_18:
	s_or_b32 exec_lo, exec_lo, s2
	v_cmp_gt_u32_e64 s0, 28, v8
	s_mov_b32 s2, exec_lo
	v_cndmask_b32_e64 v6, 0, 4, s0
	s_delay_alu instid0(VALU_DEP_1)
	v_add_lshl_u32 v6, v6, v8, 2
	s_wait_dscnt 0x0
	ds_bpermute_b32 v7, v6, v2
	ds_bpermute_b32 v11, v6, v3
	s_wait_dscnt 0x1
	v_cmpx_ne_u32_e32 0, v7
	s_cbranch_execz .LBB11_22
; %bb.19:
	v_cmp_ne_u32_e64 s0, 0, v2
	s_wait_dscnt 0x0
	v_cmp_ngt_f32_e64 s1, v10, v11
	v_mov_b32_e32 v12, v11
	s_and_b32 s0, s0, s1
	s_delay_alu instid0(SALU_CYCLE_1)
	s_and_saveexec_b32 s1, s0
; %bb.20:
	v_dual_mov_b32 v12, v10 :: v_dual_min_i32 v7, v7, v2
	v_cmp_eq_f32_e64 s0, v10, v11
	s_delay_alu instid0(VALU_DEP_1)
	v_dual_mov_b32 v11, v3 :: v_dual_cndmask_b32 v7, v2, v7, s0
; %bb.21:
	s_or_b32 exec_lo, exec_lo, s1
	s_delay_alu instid0(VALU_DEP_1)
	v_dual_mov_b32 v3, v11 :: v_dual_mov_b32 v2, v7
	v_mov_b32_e32 v10, v12
.LBB11_22:
	s_or_b32 exec_lo, exec_lo, s2
	v_cmp_gt_u32_e64 s0, 30, v8
	s_mov_b32 s2, exec_lo
	v_cndmask_b32_e64 v7, 0, 2, s0
	s_delay_alu instid0(VALU_DEP_1)
	v_add_lshl_u32 v7, v7, v8, 2
	s_wait_dscnt 0x0
	ds_bpermute_b32 v11, v7, v2
	ds_bpermute_b32 v12, v7, v3
	s_wait_dscnt 0x1
	v_cmpx_ne_u32_e32 0, v11
	s_cbranch_execz .LBB11_26
; %bb.23:
	v_cmp_ne_u32_e64 s0, 0, v2
	s_wait_dscnt 0x0
	v_cmp_ngt_f32_e64 s1, v10, v12
	v_mov_b32_e32 v13, v12
	s_and_b32 s0, s0, s1
	s_delay_alu instid0(SALU_CYCLE_1)
	s_and_saveexec_b32 s1, s0
; %bb.24:
	v_dual_mov_b32 v13, v10 :: v_dual_min_i32 v11, v11, v2
	v_cmp_eq_f32_e64 s0, v10, v12
	s_delay_alu instid0(VALU_DEP_1)
	v_dual_mov_b32 v12, v3 :: v_dual_cndmask_b32 v11, v2, v11, s0
; %bb.25:
	s_or_b32 exec_lo, exec_lo, s1
	s_delay_alu instid0(VALU_DEP_1)
	v_dual_mov_b32 v3, v12 :: v_dual_mov_b32 v2, v11
	v_mov_b32_e32 v10, v13
.LBB11_26:
	s_or_b32 exec_lo, exec_lo, s2
	v_cmp_ne_u32_e64 s0, 31, v8
	s_mov_b32 s3, exec_lo
	v_add_co_ci_u32_e64 v8, null, 0, v8, s0
	s_delay_alu instid0(VALU_DEP_1)
	v_lshlrev_b32_e32 v8, 2, v8
	ds_bpermute_b32 v11, v8, v2
	s_wait_dscnt 0x1
	ds_bpermute_b32 v12, v8, v3
	s_wait_dscnt 0x1
	v_cmpx_ne_u32_e32 0, v11
	s_cbranch_execz .LBB11_28
; %bb.27:
	v_cmp_eq_u32_e64 s0, 0, v2
	s_wait_dscnt 0x0
	v_cmp_gt_f32_e64 s1, v10, v12
	v_cmp_eq_f32_e64 s2, v10, v12
	s_or_b32 s0, s0, s1
	v_min_i32_e32 v13, v11, v2
	s_delay_alu instid0(VALU_DEP_1) | instskip(NEXT) | instid1(VALU_DEP_1)
	v_dual_cndmask_b32 v3, v3, v12, s0 :: v_dual_cndmask_b32 v2, v2, v13, s2
	v_cndmask_b32_e64 v2, v2, v11, s0
.LBB11_28:
	s_or_b32 exec_lo, exec_lo, s3
	s_delay_alu instid0(SALU_CYCLE_1)
	s_mov_b32 s1, exec_lo
	v_cmpx_eq_u32_e32 0, v9
; %bb.29:
	v_lshrrev_b32_e32 v9, 2, v0
	s_delay_alu instid0(VALU_DEP_1)
	v_and_b32_e32 v9, 0xf8, v9
	ds_store_b64 v9, v[2:3]
; %bb.30:
	s_or_b32 exec_lo, exec_lo, s1
	v_dual_mov_b32 v2, 0 :: v_dual_mov_b32 v3, 0
	s_wait_dscnt 0x0
	s_barrier_signal -1
	s_barrier_wait -1
	s_and_saveexec_b32 s0, vcc_lo
; %bb.31:
	ds_load_b64 v[2:3], v4
; %bb.32:
	s_or_b32 exec_lo, exec_lo, s0
	s_and_saveexec_b32 s2, vcc_lo
	s_cbranch_execz .LBB11_50
; %bb.33:
	s_wait_dscnt 0x0
	ds_bpermute_b32 v4, v1, v2
	ds_bpermute_b32 v1, v1, v3
	s_mov_b32 s3, exec_lo
	s_wait_dscnt 0x1
	v_cmpx_ne_u32_e32 0, v4
	s_cbranch_execz .LBB11_35
; %bb.34:
	v_cmp_eq_u32_e32 vcc_lo, 0, v2
	s_wait_dscnt 0x0
	v_cmp_gt_f32_e64 s0, v3, v1
	v_cmp_eq_f32_e64 s1, v3, v1
	s_or_b32 vcc_lo, vcc_lo, s0
	s_delay_alu instid0(SALU_CYCLE_1) | instskip(NEXT) | instid1(VALU_DEP_1)
	v_dual_cndmask_b32 v3, v3, v1, vcc_lo :: v_dual_min_i32 v9, v4, v2
	v_cndmask_b32_e64 v2, v2, v9, s1
	s_delay_alu instid0(VALU_DEP_1)
	v_cndmask_b32_e32 v2, v2, v4, vcc_lo
.LBB11_35:
	s_or_b32 exec_lo, exec_lo, s3
	ds_bpermute_b32 v4, v5, v2
	ds_bpermute_b32 v5, v5, v3
	s_wait_dscnt 0x2
	v_mov_b32_e32 v1, v3
	s_mov_b32 s1, exec_lo
	s_wait_dscnt 0x1
	v_cmpx_ne_u32_e32 0, v4
	s_cbranch_execz .LBB11_39
; %bb.36:
	v_cmp_ne_u32_e32 vcc_lo, 0, v2
	s_wait_dscnt 0x0
	v_cmp_ngt_f32_e64 s0, v3, v5
	s_and_b32 s3, vcc_lo, s0
	s_delay_alu instid0(SALU_CYCLE_1)
	s_and_saveexec_b32 s0, s3
; %bb.37:
	v_min_i32_e32 v1, v4, v2
	v_cmp_eq_f32_e32 vcc_lo, v3, v5
	s_delay_alu instid0(VALU_DEP_2)
	v_dual_mov_b32 v5, v3 :: v_dual_cndmask_b32 v4, v2, v1
; %bb.38:
	s_or_b32 exec_lo, exec_lo, s0
	s_delay_alu instid0(VALU_DEP_1)
	v_dual_mov_b32 v3, v5 :: v_dual_mov_b32 v2, v4
	v_mov_b32_e32 v1, v5
.LBB11_39:
	s_or_b32 exec_lo, exec_lo, s1
	ds_bpermute_b32 v4, v6, v2
	s_wait_dscnt 0x1
	ds_bpermute_b32 v5, v6, v3
	s_mov_b32 s1, exec_lo
	s_wait_dscnt 0x1
	v_cmpx_ne_u32_e32 0, v4
	s_cbranch_execz .LBB11_43
; %bb.40:
	v_cmp_ne_u32_e32 vcc_lo, 0, v2
	s_wait_dscnt 0x0
	v_cmp_ngt_f32_e64 s0, v1, v5
	v_mov_b32_e32 v6, v5
	s_and_b32 s3, vcc_lo, s0
	s_delay_alu instid0(SALU_CYCLE_1)
	s_and_saveexec_b32 s0, s3
; %bb.41:
	v_dual_mov_b32 v6, v1 :: v_dual_min_i32 v4, v4, v2
	v_cmp_eq_f32_e32 vcc_lo, v1, v5
	s_delay_alu instid0(VALU_DEP_2)
	v_dual_mov_b32 v5, v3 :: v_dual_cndmask_b32 v4, v2, v4
; %bb.42:
	s_or_b32 exec_lo, exec_lo, s0
	s_delay_alu instid0(VALU_DEP_1)
	v_dual_mov_b32 v3, v5 :: v_dual_mov_b32 v2, v4
	v_mov_b32_e32 v1, v6
.LBB11_43:
	s_or_b32 exec_lo, exec_lo, s1
	ds_bpermute_b32 v4, v7, v2
	s_wait_dscnt 0x1
	ds_bpermute_b32 v5, v7, v3
	s_mov_b32 s1, exec_lo
	s_wait_dscnt 0x1
	v_cmpx_ne_u32_e32 0, v4
	s_cbranch_execz .LBB11_47
; %bb.44:
	v_cmp_ne_u32_e32 vcc_lo, 0, v2
	s_wait_dscnt 0x0
	v_cmp_ngt_f32_e64 s0, v1, v5
	v_mov_b32_e32 v6, v5
	s_and_b32 s3, vcc_lo, s0
	s_delay_alu instid0(SALU_CYCLE_1)
	s_and_saveexec_b32 s0, s3
; %bb.45:
	v_dual_mov_b32 v6, v1 :: v_dual_min_i32 v4, v4, v2
	v_cmp_eq_f32_e32 vcc_lo, v1, v5
	s_delay_alu instid0(VALU_DEP_2)
	v_dual_mov_b32 v5, v3 :: v_dual_cndmask_b32 v4, v2, v4
; %bb.46:
	s_or_b32 exec_lo, exec_lo, s0
	s_delay_alu instid0(VALU_DEP_1)
	v_dual_mov_b32 v3, v5 :: v_dual_mov_b32 v2, v4
	v_mov_b32_e32 v1, v6
.LBB11_47:
	s_or_b32 exec_lo, exec_lo, s1
	ds_bpermute_b32 v4, v8, v2
	ds_bpermute_b32 v3, v8, v3
	s_mov_b32 s3, exec_lo
	s_wait_dscnt 0x1
	v_cmpx_ne_u32_e32 0, v4
	s_cbranch_execz .LBB11_49
; %bb.48:
	v_cmp_eq_u32_e32 vcc_lo, 0, v2
	s_wait_dscnt 0x0
	v_cmp_gt_f32_e64 s0, v1, v3
	v_cmp_eq_f32_e64 s1, v1, v3
	s_or_b32 vcc_lo, vcc_lo, s0
	v_min_i32_e32 v5, v4, v2
	s_delay_alu instid0(VALU_DEP_1) | instskip(NEXT) | instid1(VALU_DEP_1)
	v_cndmask_b32_e64 v1, v2, v5, s1
	v_cndmask_b32_e32 v2, v1, v4, vcc_lo
.LBB11_49:
	s_or_b32 exec_lo, exec_lo, s3
.LBB11_50:
	s_delay_alu instid0(SALU_CYCLE_1) | instskip(NEXT) | instid1(SALU_CYCLE_1)
	s_or_b32 exec_lo, exec_lo, s2
	s_mov_b32 s0, exec_lo
	v_cmpx_eq_u32_e32 0, v0
	s_cbranch_execz .LBB11_52
; %bb.51:
	s_bfe_u32 s0, ttmp6, 0x4000c
	s_and_b32 s1, ttmp6, 15
	s_add_co_i32 s0, s0, 1
	s_delay_alu instid0(SALU_CYCLE_1) | instskip(NEXT) | instid1(SALU_CYCLE_1)
	s_mul_i32 s0, ttmp9, s0
	s_add_co_i32 s1, s1, s0
	s_cmp_eq_u32 s8, 0
	s_cselect_b32 s0, ttmp9, s1
	s_delay_alu instid0(SALU_CYCLE_1)
	v_mov_b32_e32 v0, s0
	s_wait_dscnt 0x0
	global_store_b32 v0, v2, s[6:7] scale_offset
.LBB11_52:
	s_endpgm
	.section	.rodata,"a",@progbits
	.p2align	6, 0x0
	.amdhsa_kernel _ZL32rocblas_iamax_iamin_kernel_part2ILi1024E19rocblas_reduce_amin21rocblas_index_value_tIfEiEviPT1_PT2_
		.amdhsa_group_segment_fixed_size 256
		.amdhsa_private_segment_fixed_size 0
		.amdhsa_kernarg_size 24
		.amdhsa_user_sgpr_count 2
		.amdhsa_user_sgpr_dispatch_ptr 0
		.amdhsa_user_sgpr_queue_ptr 0
		.amdhsa_user_sgpr_kernarg_segment_ptr 1
		.amdhsa_user_sgpr_dispatch_id 0
		.amdhsa_user_sgpr_kernarg_preload_length 0
		.amdhsa_user_sgpr_kernarg_preload_offset 0
		.amdhsa_user_sgpr_private_segment_size 0
		.amdhsa_wavefront_size32 1
		.amdhsa_uses_dynamic_stack 0
		.amdhsa_enable_private_segment 0
		.amdhsa_system_sgpr_workgroup_id_x 1
		.amdhsa_system_sgpr_workgroup_id_y 0
		.amdhsa_system_sgpr_workgroup_id_z 0
		.amdhsa_system_sgpr_workgroup_info 0
		.amdhsa_system_vgpr_workitem_id 0
		.amdhsa_next_free_vgpr 14
		.amdhsa_next_free_sgpr 11
		.amdhsa_named_barrier_count 0
		.amdhsa_reserve_vcc 1
		.amdhsa_float_round_mode_32 0
		.amdhsa_float_round_mode_16_64 0
		.amdhsa_float_denorm_mode_32 3
		.amdhsa_float_denorm_mode_16_64 3
		.amdhsa_fp16_overflow 0
		.amdhsa_memory_ordered 1
		.amdhsa_forward_progress 1
		.amdhsa_inst_pref_size 15
		.amdhsa_round_robin_scheduling 0
		.amdhsa_exception_fp_ieee_invalid_op 0
		.amdhsa_exception_fp_denorm_src 0
		.amdhsa_exception_fp_ieee_div_zero 0
		.amdhsa_exception_fp_ieee_overflow 0
		.amdhsa_exception_fp_ieee_underflow 0
		.amdhsa_exception_fp_ieee_inexact 0
		.amdhsa_exception_int_div_zero 0
	.end_amdhsa_kernel
	.section	.text._ZL32rocblas_iamax_iamin_kernel_part2ILi1024E19rocblas_reduce_amin21rocblas_index_value_tIfEiEviPT1_PT2_,"axG",@progbits,_ZL32rocblas_iamax_iamin_kernel_part2ILi1024E19rocblas_reduce_amin21rocblas_index_value_tIfEiEviPT1_PT2_,comdat
.Lfunc_end11:
	.size	_ZL32rocblas_iamax_iamin_kernel_part2ILi1024E19rocblas_reduce_amin21rocblas_index_value_tIfEiEviPT1_PT2_, .Lfunc_end11-_ZL32rocblas_iamax_iamin_kernel_part2ILi1024E19rocblas_reduce_amin21rocblas_index_value_tIfEiEviPT1_PT2_
                                        ; -- End function
	.set _ZL32rocblas_iamax_iamin_kernel_part2ILi1024E19rocblas_reduce_amin21rocblas_index_value_tIfEiEviPT1_PT2_.num_vgpr, 14
	.set _ZL32rocblas_iamax_iamin_kernel_part2ILi1024E19rocblas_reduce_amin21rocblas_index_value_tIfEiEviPT1_PT2_.num_agpr, 0
	.set _ZL32rocblas_iamax_iamin_kernel_part2ILi1024E19rocblas_reduce_amin21rocblas_index_value_tIfEiEviPT1_PT2_.numbered_sgpr, 11
	.set _ZL32rocblas_iamax_iamin_kernel_part2ILi1024E19rocblas_reduce_amin21rocblas_index_value_tIfEiEviPT1_PT2_.num_named_barrier, 0
	.set _ZL32rocblas_iamax_iamin_kernel_part2ILi1024E19rocblas_reduce_amin21rocblas_index_value_tIfEiEviPT1_PT2_.private_seg_size, 0
	.set _ZL32rocblas_iamax_iamin_kernel_part2ILi1024E19rocblas_reduce_amin21rocblas_index_value_tIfEiEviPT1_PT2_.uses_vcc, 1
	.set _ZL32rocblas_iamax_iamin_kernel_part2ILi1024E19rocblas_reduce_amin21rocblas_index_value_tIfEiEviPT1_PT2_.uses_flat_scratch, 0
	.set _ZL32rocblas_iamax_iamin_kernel_part2ILi1024E19rocblas_reduce_amin21rocblas_index_value_tIfEiEviPT1_PT2_.has_dyn_sized_stack, 0
	.set _ZL32rocblas_iamax_iamin_kernel_part2ILi1024E19rocblas_reduce_amin21rocblas_index_value_tIfEiEviPT1_PT2_.has_recursion, 0
	.set _ZL32rocblas_iamax_iamin_kernel_part2ILi1024E19rocblas_reduce_amin21rocblas_index_value_tIfEiEviPT1_PT2_.has_indirect_call, 0
	.section	.AMDGPU.csdata,"",@progbits
; Kernel info:
; codeLenInByte = 1816
; TotalNumSgprs: 13
; NumVgprs: 14
; ScratchSize: 0
; MemoryBound: 0
; FloatMode: 240
; IeeeMode: 1
; LDSByteSize: 256 bytes/workgroup (compile time only)
; SGPRBlocks: 0
; VGPRBlocks: 0
; NumSGPRsForWavesPerEU: 13
; NumVGPRsForWavesPerEU: 14
; NamedBarCnt: 0
; Occupancy: 16
; WaveLimiterHint : 0
; COMPUTE_PGM_RSRC2:SCRATCH_EN: 0
; COMPUTE_PGM_RSRC2:USER_SGPR: 2
; COMPUTE_PGM_RSRC2:TRAP_HANDLER: 0
; COMPUTE_PGM_RSRC2:TGID_X_EN: 1
; COMPUTE_PGM_RSRC2:TGID_Y_EN: 0
; COMPUTE_PGM_RSRC2:TGID_Z_EN: 0
; COMPUTE_PGM_RSRC2:TIDIG_COMP_CNT: 0
	.section	.text._ZL32rocblas_iamax_iamin_kernel_part1ILi1024E23rocblas_fetch_amax_aminIdE19rocblas_reduce_aminPKd21rocblas_index_value_tIdEEviiT2_liliPT3_,"axG",@progbits,_ZL32rocblas_iamax_iamin_kernel_part1ILi1024E23rocblas_fetch_amax_aminIdE19rocblas_reduce_aminPKd21rocblas_index_value_tIdEEviiT2_liliPT3_,comdat
	.globl	_ZL32rocblas_iamax_iamin_kernel_part1ILi1024E23rocblas_fetch_amax_aminIdE19rocblas_reduce_aminPKd21rocblas_index_value_tIdEEviiT2_liliPT3_ ; -- Begin function _ZL32rocblas_iamax_iamin_kernel_part1ILi1024E23rocblas_fetch_amax_aminIdE19rocblas_reduce_aminPKd21rocblas_index_value_tIdEEviiT2_liliPT3_
	.p2align	8
	.type	_ZL32rocblas_iamax_iamin_kernel_part1ILi1024E23rocblas_fetch_amax_aminIdE19rocblas_reduce_aminPKd21rocblas_index_value_tIdEEviiT2_liliPT3_,@function
_ZL32rocblas_iamax_iamin_kernel_part1ILi1024E23rocblas_fetch_amax_aminIdE19rocblas_reduce_aminPKd21rocblas_index_value_tIdEEviiT2_liliPT3_: ; @_ZL32rocblas_iamax_iamin_kernel_part1ILi1024E23rocblas_fetch_amax_aminIdE19rocblas_reduce_aminPKd21rocblas_index_value_tIdEEviiT2_liliPT3_
; %bb.0:
	s_load_b32 s14, s[0:1], 0x28
	s_bfe_u32 s2, ttmp6, 0x40014
	s_lshr_b32 s3, ttmp7, 16
	s_add_co_i32 s2, s2, 1
	s_bfe_u32 s5, ttmp6, 0x40008
	s_mul_i32 s4, s3, s2
	s_getreg_b32 s2, hwreg(HW_REG_IB_STS2, 6, 4)
	s_add_co_i32 s5, s5, s4
	s_cmp_eq_u32 s2, 0
	s_mov_b32 s9, 0
	s_cselect_b32 s8, s3, s5
	s_wait_kmcnt 0x0
	s_cmp_ge_u32 s8, s14
	s_cbranch_scc1 .LBB12_51
; %bb.1:
	s_clause 0x1
	s_load_b32 s16, s[0:1], 0x18
	s_load_b128 s[4:7], s[0:1], 0x8
	s_bfe_u32 s3, ttmp6, 0x4000c
	s_and_b32 s15, ttmp6, 15
	s_add_co_i32 s3, s3, 1
	v_dual_mov_b32 v3, 0 :: v_dual_bitop2_b32 v6, 31, v0 bitop3:0x40
	s_mul_i32 s3, ttmp9, s3
	v_mbcnt_lo_u32_b32 v7, -1, 0
	s_add_co_i32 s15, s15, s3
	s_clause 0x1
	s_load_b64 s[10:11], s[0:1], 0x20
	s_load_b64 s[12:13], s[0:1], 0x30
	v_dual_lshrrev_b32 v8, 1, v0 :: v_dual_lshlrev_b32 v14, 4, v6
	v_cmp_gt_u32_e32 vcc_lo, 32, v0
	v_lshl_or_b32 v15, v7, 2, 64
	s_delay_alu instid0(VALU_DEP_3)
	v_and_b32_e32 v16, 0x1f0, v8
	s_wait_kmcnt 0x0
	s_ashr_i32 s17, s16, 31
	s_lshl_b64 s[6:7], s[6:7], 3
	s_cmp_eq_u32 s2, 0
	s_load_b64 s[2:3], s[0:1], 0x0
	s_cselect_b32 s15, ttmp9, s15
	s_wait_xcnt 0x0
	v_cmp_gt_u32_e64 s1, 24, v7
	v_lshl_or_b32 v2, s15, 10, v0
	v_cmp_eq_u32_e64 s0, 0, v0
	v_mov_b64_e32 v[0:1], 0
	s_add_nc_u64 s[4:5], s[4:5], s[6:7]
	v_cndmask_b32_e64 v9, 0, 8, s1
	v_mul_u64_e32 v[4:5], s[16:17], v[2:3]
	v_cmp_gt_u32_e64 s1, 28, v7
	s_delay_alu instid0(VALU_DEP_3) | instskip(NEXT) | instid1(VALU_DEP_2)
	v_add_lshl_u32 v17, v9, v7, 2
	v_cndmask_b32_e64 v10, 0, 4, s1
	v_cmp_gt_u32_e64 s1, 30, v7
	s_delay_alu instid0(VALU_DEP_2) | instskip(NEXT) | instid1(VALU_DEP_2)
	v_add_lshl_u32 v18, v10, v7, 2
	v_cndmask_b32_e64 v11, 0, 2, s1
	v_cmp_ne_u32_e64 s1, 31, v7
	s_wait_kmcnt 0x0
	s_mov_b32 s16, s2
	s_ashr_i32 s17, s2, 31
	s_delay_alu instid0(SALU_CYCLE_1) | instskip(SKIP_3) | instid1(VALU_DEP_3)
	v_cmp_gt_i64_e64 s2, s[16:17], v[2:3]
	v_add_co_ci_u32_e64 v12, null, 0, v7, s1
	v_cmp_eq_u32_e64 s1, 0, v6
	v_add_lshl_u32 v19, v11, v7, 2
	v_dual_add_nc_u32 v2, 1, v2 :: v_dual_lshlrev_b32 v20, 2, v12
	v_lshl_add_u64 v[4:5], v[4:5], 3, s[4:5]
	s_mul_i32 s4, s8, s3
	s_delay_alu instid0(SALU_CYCLE_1)
	s_add_co_i32 s6, s15, s4
	s_lshl_b32 s15, s3, 16
	s_branch .LBB12_3
.LBB12_2:                               ;   in Loop: Header=BB12_3 Depth=1
	s_wait_xcnt 0x0
	s_or_b32 exec_lo, exec_lo, s3
	s_add_co_i32 s8, s8, 0x10000
	s_add_co_i32 s6, s6, s15
	s_cmp_lt_u32 s8, s14
	s_cbranch_scc0 .LBB12_51
.LBB12_3:                               ; =>This Inner Loop Header: Depth=1
	s_wait_dscnt 0x1
	v_mov_b32_e32 v21, 0
                                        ; implicit-def: $vgpr6_vgpr7
	s_and_saveexec_b32 s4, s2
	s_cbranch_execz .LBB12_5
; %bb.4:                                ;   in Loop: Header=BB12_3 Depth=1
	s_mul_u64 s[16:17], s[10:11], s[8:9]
	v_mov_b32_e32 v21, v2
	s_wait_dscnt 0x0
	v_lshl_add_u64 v[6:7], s[16:17], 3, v[4:5]
	global_load_b64 v[6:7], v[6:7], off
	s_wait_loadcnt 0x0
	v_cmp_gt_f64_e64 s3, 0, v[6:7]
	v_xor_b32_e32 v8, 0x80000000, v7
	s_wait_xcnt 0x0
	s_delay_alu instid0(VALU_DEP_1)
	v_cndmask_b32_e64 v7, v7, v8, s3
.LBB12_5:                               ;   in Loop: Header=BB12_3 Depth=1
	s_or_b32 exec_lo, exec_lo, s4
	s_and_saveexec_b32 s3, vcc_lo
	s_cbranch_execz .LBB12_7
; %bb.6:                                ;   in Loop: Header=BB12_3 Depth=1
	ds_store_b32 v14, v3
	ds_store_b64 v14, v[0:1] offset:8
.LBB12_7:                               ;   in Loop: Header=BB12_3 Depth=1
	s_or_b32 exec_lo, exec_lo, s3
	ds_bpermute_b32 v12, v15, v21
	s_wait_dscnt 0x1
	ds_bpermute_b32 v10, v15, v6
	ds_bpermute_b32 v11, v15, v7
	v_mov_b64_e32 v[8:9], v[6:7]
	s_mov_b32 s5, exec_lo
	s_wait_dscnt 0x0
	s_barrier_signal -1
	s_barrier_wait -1
	v_cmpx_ne_u32_e32 0, v12
	s_cbranch_execz .LBB12_11
; %bb.8:                                ;   in Loop: Header=BB12_3 Depth=1
	v_cmp_ngt_f64_e64 s3, v[6:7], v[10:11]
	v_cmp_ne_u32_e64 s4, 0, v21
	v_mov_b64_e32 v[8:9], v[10:11]
	s_and_b32 s3, s4, s3
	s_delay_alu instid0(SALU_CYCLE_1)
	s_and_saveexec_b32 s4, s3
	s_cbranch_execz .LBB12_10
; %bb.9:                                ;   in Loop: Header=BB12_3 Depth=1
	v_cmp_eq_f64_e64 s3, v[6:7], v[10:11]
	v_dual_mov_b32 v10, v6 :: v_dual_min_i32 v12, v12, v21
	v_mov_b64_e32 v[8:9], v[6:7]
	s_delay_alu instid0(VALU_DEP_2)
	v_dual_mov_b32 v11, v7 :: v_dual_cndmask_b32 v12, v21, v12, s3
.LBB12_10:                              ;   in Loop: Header=BB12_3 Depth=1
	s_or_b32 exec_lo, exec_lo, s4
	s_delay_alu instid0(VALU_DEP_1) | instskip(NEXT) | instid1(VALU_DEP_2)
	v_dual_mov_b32 v7, v11 :: v_dual_mov_b32 v6, v10
	v_mov_b32_e32 v21, v12
.LBB12_11:                              ;   in Loop: Header=BB12_3 Depth=1
	s_or_b32 exec_lo, exec_lo, s5
	ds_bpermute_b32 v22, v17, v21
	ds_bpermute_b32 v10, v17, v6
	;; [unrolled: 1-line block ×3, first 2 shown]
	s_mov_b32 s5, exec_lo
	s_wait_dscnt 0x2
	v_cmpx_ne_u32_e32 0, v22
	s_cbranch_execz .LBB12_15
; %bb.12:                               ;   in Loop: Header=BB12_3 Depth=1
	s_wait_dscnt 0x0
	v_cmp_ngt_f64_e64 s3, v[8:9], v[10:11]
	v_cmp_ne_u32_e64 s4, 0, v21
	v_mov_b64_e32 v[12:13], v[10:11]
	s_and_b32 s3, s4, s3
	s_delay_alu instid0(SALU_CYCLE_1)
	s_and_saveexec_b32 s4, s3
	s_cbranch_execz .LBB12_14
; %bb.13:                               ;   in Loop: Header=BB12_3 Depth=1
	v_cmp_eq_f64_e64 s3, v[8:9], v[10:11]
	v_dual_mov_b32 v11, v7 :: v_dual_min_i32 v22, v22, v21
	v_mov_b64_e32 v[12:13], v[8:9]
	s_delay_alu instid0(VALU_DEP_2)
	v_dual_mov_b32 v10, v6 :: v_dual_cndmask_b32 v22, v21, v22, s3
.LBB12_14:                              ;   in Loop: Header=BB12_3 Depth=1
	s_or_b32 exec_lo, exec_lo, s4
	s_delay_alu instid0(VALU_DEP_1) | instskip(NEXT) | instid1(VALU_DEP_2)
	v_mov_b64_e32 v[8:9], v[12:13]
	v_dual_mov_b32 v7, v11 :: v_dual_mov_b32 v6, v10
	s_delay_alu instid0(VALU_DEP_3)
	v_mov_b32_e32 v21, v22
.LBB12_15:                              ;   in Loop: Header=BB12_3 Depth=1
	s_or_b32 exec_lo, exec_lo, s5
	ds_bpermute_b32 v22, v18, v21
	s_wait_dscnt 0x2
	ds_bpermute_b32 v10, v18, v6
	s_wait_dscnt 0x2
	ds_bpermute_b32 v11, v18, v7
	s_mov_b32 s5, exec_lo
	s_wait_dscnt 0x2
	v_cmpx_ne_u32_e32 0, v22
	s_cbranch_execz .LBB12_19
; %bb.16:                               ;   in Loop: Header=BB12_3 Depth=1
	s_wait_dscnt 0x0
	v_cmp_ngt_f64_e64 s3, v[8:9], v[10:11]
	v_cmp_ne_u32_e64 s4, 0, v21
	v_mov_b64_e32 v[12:13], v[10:11]
	s_and_b32 s3, s4, s3
	s_delay_alu instid0(SALU_CYCLE_1)
	s_and_saveexec_b32 s4, s3
	s_cbranch_execz .LBB12_18
; %bb.17:                               ;   in Loop: Header=BB12_3 Depth=1
	v_cmp_eq_f64_e64 s3, v[8:9], v[10:11]
	v_dual_mov_b32 v11, v7 :: v_dual_min_i32 v22, v22, v21
	v_mov_b64_e32 v[12:13], v[8:9]
	s_delay_alu instid0(VALU_DEP_2)
	v_dual_mov_b32 v10, v6 :: v_dual_cndmask_b32 v22, v21, v22, s3
.LBB12_18:                              ;   in Loop: Header=BB12_3 Depth=1
	s_or_b32 exec_lo, exec_lo, s4
	s_delay_alu instid0(VALU_DEP_1) | instskip(NEXT) | instid1(VALU_DEP_2)
	v_mov_b64_e32 v[8:9], v[12:13]
	v_dual_mov_b32 v7, v11 :: v_dual_mov_b32 v6, v10
	s_delay_alu instid0(VALU_DEP_3)
	v_mov_b32_e32 v21, v22
.LBB12_19:                              ;   in Loop: Header=BB12_3 Depth=1
	s_or_b32 exec_lo, exec_lo, s5
	ds_bpermute_b32 v22, v19, v21
	s_wait_dscnt 0x2
	ds_bpermute_b32 v10, v19, v6
	s_wait_dscnt 0x2
	ds_bpermute_b32 v11, v19, v7
	s_mov_b32 s5, exec_lo
	s_wait_dscnt 0x2
	v_cmpx_ne_u32_e32 0, v22
	s_cbranch_execz .LBB12_23
; %bb.20:                               ;   in Loop: Header=BB12_3 Depth=1
	s_wait_dscnt 0x0
	v_cmp_ngt_f64_e64 s3, v[8:9], v[10:11]
	v_cmp_ne_u32_e64 s4, 0, v21
	v_mov_b64_e32 v[12:13], v[10:11]
	s_and_b32 s3, s4, s3
	s_delay_alu instid0(SALU_CYCLE_1)
	s_and_saveexec_b32 s4, s3
	s_cbranch_execz .LBB12_22
; %bb.21:                               ;   in Loop: Header=BB12_3 Depth=1
	v_cmp_eq_f64_e64 s3, v[8:9], v[10:11]
	v_dual_mov_b32 v11, v7 :: v_dual_min_i32 v22, v22, v21
	v_mov_b64_e32 v[12:13], v[8:9]
	s_delay_alu instid0(VALU_DEP_2)
	v_dual_mov_b32 v10, v6 :: v_dual_cndmask_b32 v22, v21, v22, s3
.LBB12_22:                              ;   in Loop: Header=BB12_3 Depth=1
	s_or_b32 exec_lo, exec_lo, s4
	s_delay_alu instid0(VALU_DEP_1) | instskip(NEXT) | instid1(VALU_DEP_2)
	v_mov_b64_e32 v[8:9], v[12:13]
	v_dual_mov_b32 v7, v11 :: v_dual_mov_b32 v6, v10
	s_delay_alu instid0(VALU_DEP_3)
	v_mov_b32_e32 v21, v22
.LBB12_23:                              ;   in Loop: Header=BB12_3 Depth=1
	s_or_b32 exec_lo, exec_lo, s5
	s_wait_dscnt 0x1
	ds_bpermute_b32 v10, v20, v21
	ds_bpermute_b32 v6, v20, v6
	;; [unrolled: 1-line block ×3, first 2 shown]
	s_mov_b32 s7, exec_lo
	s_wait_dscnt 0x2
	v_cmpx_ne_u32_e32 0, v10
	s_cbranch_execz .LBB12_25
; %bb.24:                               ;   in Loop: Header=BB12_3 Depth=1
	s_wait_dscnt 0x0
	v_cmp_gt_f64_e64 s3, v[8:9], v[6:7]
	v_cmp_eq_f64_e64 s5, v[8:9], v[6:7]
	v_cmp_eq_u32_e64 s4, 0, v21
	s_or_b32 s3, s4, s3
	s_delay_alu instid0(SALU_CYCLE_1) | instskip(NEXT) | instid1(VALU_DEP_1)
	v_dual_cndmask_b32 v9, v9, v7, s3 :: v_dual_min_i32 v11, v10, v21
	v_dual_cndmask_b32 v8, v8, v6, s3 :: v_dual_cndmask_b32 v11, v21, v11, s5
	s_delay_alu instid0(VALU_DEP_1)
	v_cndmask_b32_e64 v21, v11, v10, s3
.LBB12_25:                              ;   in Loop: Header=BB12_3 Depth=1
	s_or_b32 exec_lo, exec_lo, s7
	s_and_saveexec_b32 s3, s1
	s_cbranch_execz .LBB12_27
; %bb.26:                               ;   in Loop: Header=BB12_3 Depth=1
	ds_store_b32 v16, v21
	ds_store_b64 v16, v[8:9] offset:8
.LBB12_27:                              ;   in Loop: Header=BB12_3 Depth=1
	s_or_b32 exec_lo, exec_lo, s3
	s_wait_dscnt 0x0
	v_mov_b64_e32 v[6:7], 0
	v_mov_b32_e32 v21, 0
	s_barrier_signal -1
	s_barrier_wait -1
	s_and_saveexec_b32 s3, vcc_lo
	s_cbranch_execnz .LBB12_30
; %bb.28:                               ;   in Loop: Header=BB12_3 Depth=1
	s_or_b32 exec_lo, exec_lo, s3
	s_and_saveexec_b32 s7, vcc_lo
	s_cbranch_execnz .LBB12_31
.LBB12_29:                              ;   in Loop: Header=BB12_3 Depth=1
	s_or_b32 exec_lo, exec_lo, s7
	s_and_saveexec_b32 s3, s0
	s_cbranch_execz .LBB12_2
	s_branch .LBB12_50
.LBB12_30:                              ;   in Loop: Header=BB12_3 Depth=1
	ds_load_b32 v21, v14
	ds_load_b64 v[6:7], v14 offset:8
	s_or_b32 exec_lo, exec_lo, s3
	s_and_saveexec_b32 s7, vcc_lo
	s_cbranch_execz .LBB12_29
.LBB12_31:                              ;   in Loop: Header=BB12_3 Depth=1
	s_wait_dscnt 0x1
	ds_bpermute_b32 v12, v15, v21
	s_wait_dscnt 0x1
	ds_bpermute_b32 v10, v15, v6
	ds_bpermute_b32 v11, v15, v7
	v_mov_b64_e32 v[8:9], v[6:7]
	s_mov_b32 s5, exec_lo
	s_wait_dscnt 0x2
	v_cmpx_ne_u32_e32 0, v12
	s_cbranch_execz .LBB12_35
; %bb.32:                               ;   in Loop: Header=BB12_3 Depth=1
	s_wait_dscnt 0x0
	v_cmp_ngt_f64_e64 s3, v[6:7], v[10:11]
	v_cmp_ne_u32_e64 s4, 0, v21
	v_mov_b64_e32 v[8:9], v[10:11]
	s_and_b32 s3, s4, s3
	s_delay_alu instid0(SALU_CYCLE_1)
	s_and_saveexec_b32 s4, s3
	s_cbranch_execz .LBB12_34
; %bb.33:                               ;   in Loop: Header=BB12_3 Depth=1
	v_cmp_eq_f64_e64 s3, v[6:7], v[10:11]
	v_dual_mov_b32 v10, v6 :: v_dual_min_i32 v12, v12, v21
	v_mov_b64_e32 v[8:9], v[6:7]
	s_delay_alu instid0(VALU_DEP_2)
	v_dual_mov_b32 v11, v7 :: v_dual_cndmask_b32 v12, v21, v12, s3
.LBB12_34:                              ;   in Loop: Header=BB12_3 Depth=1
	s_or_b32 exec_lo, exec_lo, s4
	s_delay_alu instid0(VALU_DEP_1) | instskip(NEXT) | instid1(VALU_DEP_2)
	v_dual_mov_b32 v7, v11 :: v_dual_mov_b32 v6, v10
	v_mov_b32_e32 v21, v12
.LBB12_35:                              ;   in Loop: Header=BB12_3 Depth=1
	s_or_b32 exec_lo, exec_lo, s5
	ds_bpermute_b32 v22, v17, v21
	s_wait_dscnt 0x2
	ds_bpermute_b32 v10, v17, v6
	s_wait_dscnt 0x2
	ds_bpermute_b32 v11, v17, v7
	s_mov_b32 s5, exec_lo
	s_wait_dscnt 0x2
	v_cmpx_ne_u32_e32 0, v22
	s_cbranch_execz .LBB12_39
; %bb.36:                               ;   in Loop: Header=BB12_3 Depth=1
	s_wait_dscnt 0x0
	v_cmp_ngt_f64_e64 s3, v[8:9], v[10:11]
	v_cmp_ne_u32_e64 s4, 0, v21
	v_mov_b64_e32 v[12:13], v[10:11]
	s_and_b32 s3, s4, s3
	s_delay_alu instid0(SALU_CYCLE_1)
	s_and_saveexec_b32 s4, s3
	s_cbranch_execz .LBB12_38
; %bb.37:                               ;   in Loop: Header=BB12_3 Depth=1
	v_cmp_eq_f64_e64 s3, v[8:9], v[10:11]
	v_dual_mov_b32 v11, v7 :: v_dual_min_i32 v22, v22, v21
	v_mov_b64_e32 v[12:13], v[8:9]
	s_delay_alu instid0(VALU_DEP_2)
	v_dual_mov_b32 v10, v6 :: v_dual_cndmask_b32 v22, v21, v22, s3
.LBB12_38:                              ;   in Loop: Header=BB12_3 Depth=1
	s_or_b32 exec_lo, exec_lo, s4
	s_delay_alu instid0(VALU_DEP_1) | instskip(NEXT) | instid1(VALU_DEP_2)
	v_mov_b64_e32 v[8:9], v[12:13]
	v_dual_mov_b32 v7, v11 :: v_dual_mov_b32 v6, v10
	s_delay_alu instid0(VALU_DEP_3)
	v_mov_b32_e32 v21, v22
.LBB12_39:                              ;   in Loop: Header=BB12_3 Depth=1
	s_or_b32 exec_lo, exec_lo, s5
	ds_bpermute_b32 v22, v18, v21
	s_wait_dscnt 0x2
	ds_bpermute_b32 v10, v18, v6
	s_wait_dscnt 0x2
	ds_bpermute_b32 v11, v18, v7
	s_mov_b32 s5, exec_lo
	s_wait_dscnt 0x2
	v_cmpx_ne_u32_e32 0, v22
	s_cbranch_execz .LBB12_43
; %bb.40:                               ;   in Loop: Header=BB12_3 Depth=1
	s_wait_dscnt 0x0
	v_cmp_ngt_f64_e64 s3, v[8:9], v[10:11]
	v_cmp_ne_u32_e64 s4, 0, v21
	v_mov_b64_e32 v[12:13], v[10:11]
	s_and_b32 s3, s4, s3
	s_delay_alu instid0(SALU_CYCLE_1)
	s_and_saveexec_b32 s4, s3
	s_cbranch_execz .LBB12_42
; %bb.41:                               ;   in Loop: Header=BB12_3 Depth=1
	v_cmp_eq_f64_e64 s3, v[8:9], v[10:11]
	v_dual_mov_b32 v11, v7 :: v_dual_min_i32 v22, v22, v21
	v_mov_b64_e32 v[12:13], v[8:9]
	s_delay_alu instid0(VALU_DEP_2)
	v_dual_mov_b32 v10, v6 :: v_dual_cndmask_b32 v22, v21, v22, s3
.LBB12_42:                              ;   in Loop: Header=BB12_3 Depth=1
	s_or_b32 exec_lo, exec_lo, s4
	s_delay_alu instid0(VALU_DEP_1) | instskip(NEXT) | instid1(VALU_DEP_2)
	v_mov_b64_e32 v[8:9], v[12:13]
	v_dual_mov_b32 v7, v11 :: v_dual_mov_b32 v6, v10
	s_delay_alu instid0(VALU_DEP_3)
	v_mov_b32_e32 v21, v22
.LBB12_43:                              ;   in Loop: Header=BB12_3 Depth=1
	s_or_b32 exec_lo, exec_lo, s5
	ds_bpermute_b32 v22, v19, v21
	s_wait_dscnt 0x2
	ds_bpermute_b32 v10, v19, v6
	s_wait_dscnt 0x2
	ds_bpermute_b32 v11, v19, v7
	s_mov_b32 s5, exec_lo
	s_wait_dscnt 0x2
	v_cmpx_ne_u32_e32 0, v22
	s_cbranch_execz .LBB12_47
; %bb.44:                               ;   in Loop: Header=BB12_3 Depth=1
	s_wait_dscnt 0x0
	v_cmp_ngt_f64_e64 s3, v[8:9], v[10:11]
	v_cmp_ne_u32_e64 s4, 0, v21
	v_mov_b64_e32 v[12:13], v[10:11]
	s_and_b32 s3, s4, s3
	s_delay_alu instid0(SALU_CYCLE_1)
	s_and_saveexec_b32 s4, s3
	s_cbranch_execz .LBB12_46
; %bb.45:                               ;   in Loop: Header=BB12_3 Depth=1
	v_cmp_eq_f64_e64 s3, v[8:9], v[10:11]
	v_dual_mov_b32 v11, v7 :: v_dual_min_i32 v22, v22, v21
	v_mov_b64_e32 v[12:13], v[8:9]
	s_delay_alu instid0(VALU_DEP_2)
	v_dual_mov_b32 v10, v6 :: v_dual_cndmask_b32 v22, v21, v22, s3
.LBB12_46:                              ;   in Loop: Header=BB12_3 Depth=1
	s_or_b32 exec_lo, exec_lo, s4
	s_delay_alu instid0(VALU_DEP_1) | instskip(NEXT) | instid1(VALU_DEP_2)
	v_mov_b64_e32 v[8:9], v[12:13]
	v_dual_mov_b32 v7, v11 :: v_dual_mov_b32 v6, v10
	s_delay_alu instid0(VALU_DEP_3)
	v_mov_b32_e32 v21, v22
.LBB12_47:                              ;   in Loop: Header=BB12_3 Depth=1
	s_or_b32 exec_lo, exec_lo, s5
	s_wait_dscnt 0x1
	ds_bpermute_b32 v10, v20, v21
	ds_bpermute_b32 v6, v20, v6
	;; [unrolled: 1-line block ×3, first 2 shown]
	s_mov_b32 s16, exec_lo
	s_wait_dscnt 0x2
	v_cmpx_ne_u32_e32 0, v10
	s_cbranch_execz .LBB12_49
; %bb.48:                               ;   in Loop: Header=BB12_3 Depth=1
	s_wait_dscnt 0x0
	v_cmp_gt_f64_e64 s3, v[8:9], v[6:7]
	v_cmp_eq_f64_e64 s5, v[8:9], v[6:7]
	v_cmp_eq_u32_e64 s4, 0, v21
	s_or_b32 s3, s4, s3
	s_delay_alu instid0(SALU_CYCLE_1) | instskip(NEXT) | instid1(VALU_DEP_1)
	v_dual_cndmask_b32 v9, v9, v7, s3 :: v_dual_min_i32 v11, v10, v21
	v_dual_cndmask_b32 v8, v8, v6, s3 :: v_dual_cndmask_b32 v11, v21, v11, s5
	s_delay_alu instid0(VALU_DEP_1)
	v_cndmask_b32_e64 v21, v11, v10, s3
.LBB12_49:                              ;   in Loop: Header=BB12_3 Depth=1
	s_or_b32 exec_lo, exec_lo, s16
	s_wait_dscnt 0x0
	s_delay_alu instid0(VALU_DEP_2)
	v_mov_b64_e32 v[6:7], v[8:9]
	s_or_b32 exec_lo, exec_lo, s7
	s_and_saveexec_b32 s3, s0
	s_cbranch_execz .LBB12_2
.LBB12_50:                              ;   in Loop: Header=BB12_3 Depth=1
	s_mov_b32 s7, s9
	s_delay_alu instid0(SALU_CYCLE_1) | instskip(NEXT) | instid1(SALU_CYCLE_1)
	s_lshl_b64 s[4:5], s[6:7], 4
	s_add_nc_u64 s[4:5], s[12:13], s[4:5]
	s_wait_dscnt 0x1
	global_store_b32 v3, v21, s[4:5]
	s_wait_dscnt 0x0
	global_store_b64 v3, v[6:7], s[4:5] offset:8
	s_branch .LBB12_2
.LBB12_51:
	s_endpgm
	.section	.rodata,"a",@progbits
	.p2align	6, 0x0
	.amdhsa_kernel _ZL32rocblas_iamax_iamin_kernel_part1ILi1024E23rocblas_fetch_amax_aminIdE19rocblas_reduce_aminPKd21rocblas_index_value_tIdEEviiT2_liliPT3_
		.amdhsa_group_segment_fixed_size 512
		.amdhsa_private_segment_fixed_size 0
		.amdhsa_kernarg_size 56
		.amdhsa_user_sgpr_count 2
		.amdhsa_user_sgpr_dispatch_ptr 0
		.amdhsa_user_sgpr_queue_ptr 0
		.amdhsa_user_sgpr_kernarg_segment_ptr 1
		.amdhsa_user_sgpr_dispatch_id 0
		.amdhsa_user_sgpr_kernarg_preload_length 0
		.amdhsa_user_sgpr_kernarg_preload_offset 0
		.amdhsa_user_sgpr_private_segment_size 0
		.amdhsa_wavefront_size32 1
		.amdhsa_uses_dynamic_stack 0
		.amdhsa_enable_private_segment 0
		.amdhsa_system_sgpr_workgroup_id_x 1
		.amdhsa_system_sgpr_workgroup_id_y 0
		.amdhsa_system_sgpr_workgroup_id_z 1
		.amdhsa_system_sgpr_workgroup_info 0
		.amdhsa_system_vgpr_workitem_id 0
		.amdhsa_next_free_vgpr 23
		.amdhsa_next_free_sgpr 18
		.amdhsa_named_barrier_count 0
		.amdhsa_reserve_vcc 1
		.amdhsa_float_round_mode_32 0
		.amdhsa_float_round_mode_16_64 0
		.amdhsa_float_denorm_mode_32 3
		.amdhsa_float_denorm_mode_16_64 3
		.amdhsa_fp16_overflow 0
		.amdhsa_memory_ordered 1
		.amdhsa_forward_progress 1
		.amdhsa_inst_pref_size 18
		.amdhsa_round_robin_scheduling 0
		.amdhsa_exception_fp_ieee_invalid_op 0
		.amdhsa_exception_fp_denorm_src 0
		.amdhsa_exception_fp_ieee_div_zero 0
		.amdhsa_exception_fp_ieee_overflow 0
		.amdhsa_exception_fp_ieee_underflow 0
		.amdhsa_exception_fp_ieee_inexact 0
		.amdhsa_exception_int_div_zero 0
	.end_amdhsa_kernel
	.section	.text._ZL32rocblas_iamax_iamin_kernel_part1ILi1024E23rocblas_fetch_amax_aminIdE19rocblas_reduce_aminPKd21rocblas_index_value_tIdEEviiT2_liliPT3_,"axG",@progbits,_ZL32rocblas_iamax_iamin_kernel_part1ILi1024E23rocblas_fetch_amax_aminIdE19rocblas_reduce_aminPKd21rocblas_index_value_tIdEEviiT2_liliPT3_,comdat
.Lfunc_end12:
	.size	_ZL32rocblas_iamax_iamin_kernel_part1ILi1024E23rocblas_fetch_amax_aminIdE19rocblas_reduce_aminPKd21rocblas_index_value_tIdEEviiT2_liliPT3_, .Lfunc_end12-_ZL32rocblas_iamax_iamin_kernel_part1ILi1024E23rocblas_fetch_amax_aminIdE19rocblas_reduce_aminPKd21rocblas_index_value_tIdEEviiT2_liliPT3_
                                        ; -- End function
	.set _ZL32rocblas_iamax_iamin_kernel_part1ILi1024E23rocblas_fetch_amax_aminIdE19rocblas_reduce_aminPKd21rocblas_index_value_tIdEEviiT2_liliPT3_.num_vgpr, 23
	.set _ZL32rocblas_iamax_iamin_kernel_part1ILi1024E23rocblas_fetch_amax_aminIdE19rocblas_reduce_aminPKd21rocblas_index_value_tIdEEviiT2_liliPT3_.num_agpr, 0
	.set _ZL32rocblas_iamax_iamin_kernel_part1ILi1024E23rocblas_fetch_amax_aminIdE19rocblas_reduce_aminPKd21rocblas_index_value_tIdEEviiT2_liliPT3_.numbered_sgpr, 18
	.set _ZL32rocblas_iamax_iamin_kernel_part1ILi1024E23rocblas_fetch_amax_aminIdE19rocblas_reduce_aminPKd21rocblas_index_value_tIdEEviiT2_liliPT3_.num_named_barrier, 0
	.set _ZL32rocblas_iamax_iamin_kernel_part1ILi1024E23rocblas_fetch_amax_aminIdE19rocblas_reduce_aminPKd21rocblas_index_value_tIdEEviiT2_liliPT3_.private_seg_size, 0
	.set _ZL32rocblas_iamax_iamin_kernel_part1ILi1024E23rocblas_fetch_amax_aminIdE19rocblas_reduce_aminPKd21rocblas_index_value_tIdEEviiT2_liliPT3_.uses_vcc, 1
	.set _ZL32rocblas_iamax_iamin_kernel_part1ILi1024E23rocblas_fetch_amax_aminIdE19rocblas_reduce_aminPKd21rocblas_index_value_tIdEEviiT2_liliPT3_.uses_flat_scratch, 0
	.set _ZL32rocblas_iamax_iamin_kernel_part1ILi1024E23rocblas_fetch_amax_aminIdE19rocblas_reduce_aminPKd21rocblas_index_value_tIdEEviiT2_liliPT3_.has_dyn_sized_stack, 0
	.set _ZL32rocblas_iamax_iamin_kernel_part1ILi1024E23rocblas_fetch_amax_aminIdE19rocblas_reduce_aminPKd21rocblas_index_value_tIdEEviiT2_liliPT3_.has_recursion, 0
	.set _ZL32rocblas_iamax_iamin_kernel_part1ILi1024E23rocblas_fetch_amax_aminIdE19rocblas_reduce_aminPKd21rocblas_index_value_tIdEEviiT2_liliPT3_.has_indirect_call, 0
	.section	.AMDGPU.csdata,"",@progbits
; Kernel info:
; codeLenInByte = 2232
; TotalNumSgprs: 20
; NumVgprs: 23
; ScratchSize: 0
; MemoryBound: 0
; FloatMode: 240
; IeeeMode: 1
; LDSByteSize: 512 bytes/workgroup (compile time only)
; SGPRBlocks: 0
; VGPRBlocks: 1
; NumSGPRsForWavesPerEU: 20
; NumVGPRsForWavesPerEU: 23
; NamedBarCnt: 0
; Occupancy: 16
; WaveLimiterHint : 0
; COMPUTE_PGM_RSRC2:SCRATCH_EN: 0
; COMPUTE_PGM_RSRC2:USER_SGPR: 2
; COMPUTE_PGM_RSRC2:TRAP_HANDLER: 0
; COMPUTE_PGM_RSRC2:TGID_X_EN: 1
; COMPUTE_PGM_RSRC2:TGID_Y_EN: 0
; COMPUTE_PGM_RSRC2:TGID_Z_EN: 1
; COMPUTE_PGM_RSRC2:TIDIG_COMP_CNT: 0
	.section	.text._ZL32rocblas_iamax_iamin_kernel_part2ILi1024E19rocblas_reduce_amin21rocblas_index_value_tIdEiEviPT1_PT2_,"axG",@progbits,_ZL32rocblas_iamax_iamin_kernel_part2ILi1024E19rocblas_reduce_amin21rocblas_index_value_tIdEiEviPT1_PT2_,comdat
	.globl	_ZL32rocblas_iamax_iamin_kernel_part2ILi1024E19rocblas_reduce_amin21rocblas_index_value_tIdEiEviPT1_PT2_ ; -- Begin function _ZL32rocblas_iamax_iamin_kernel_part2ILi1024E19rocblas_reduce_amin21rocblas_index_value_tIdEiEviPT1_PT2_
	.p2align	8
	.type	_ZL32rocblas_iamax_iamin_kernel_part2ILi1024E19rocblas_reduce_amin21rocblas_index_value_tIdEiEviPT1_PT2_,@function
_ZL32rocblas_iamax_iamin_kernel_part2ILi1024E19rocblas_reduce_amin21rocblas_index_value_tIdEiEviPT1_PT2_: ; @_ZL32rocblas_iamax_iamin_kernel_part2ILi1024E19rocblas_reduce_amin21rocblas_index_value_tIdEiEviPT1_PT2_
; %bb.0:
	s_clause 0x1
	s_load_b32 s10, s[0:1], 0x0
	s_load_b128 s[4:7], s[0:1], 0x8
	v_mov_b32_e32 v1, 0
	s_getreg_b32 s8, hwreg(HW_REG_IB_STS2, 6, 4)
	s_mov_b32 s9, exec_lo
                                        ; implicit-def: $vgpr2_vgpr3
	s_wait_kmcnt 0x0
	v_cmpx_gt_i32_e64 s10, v0
	s_cbranch_execz .LBB13_10
; %bb.1:
	s_bfe_u32 s0, ttmp6, 0x4000c
	s_and_b32 s1, ttmp6, 15
	s_add_co_i32 s0, s0, 1
	v_lshlrev_b32_e32 v4, 4, v0
	s_mul_i32 s0, ttmp9, s0
	v_or_b32_e32 v8, 0x400, v0
	s_add_co_i32 s1, s1, s0
	s_cmp_eq_u32 s8, 0
	s_cselect_b32 s0, ttmp9, s1
	s_mov_b32 s1, 0
	s_mul_i32 s0, s10, s0
	s_delay_alu instid0(SALU_CYCLE_1) | instskip(NEXT) | instid1(SALU_CYCLE_1)
	s_lshl_b64 s[2:3], s[0:1], 4
	s_add_nc_u64 s[2:3], s[4:5], s[2:3]
	s_mov_b32 s4, exec_lo
	s_clause 0x1
	global_load_b32 v1, v4, s[2:3]
	global_load_b64 v[2:3], v4, s[2:3] offset:8
	s_wait_xcnt 0x0
	v_cmpx_gt_u32_e64 s10, v8
	s_cbranch_execz .LBB13_9
; %bb.2:
	v_mov_b32_e32 v5, 0
	s_delay_alu instid0(VALU_DEP_1) | instskip(NEXT) | instid1(VALU_DEP_1)
	v_add_nc_u64_e32 v[4:5], s[2:3], v[4:5]
	v_add_nc_u64_e32 v[4:5], 0x4000, v[4:5]
	s_branch .LBB13_5
.LBB13_3:                               ;   in Loop: Header=BB13_5 Depth=1
	s_or_b32 exec_lo, exec_lo, s0
	s_delay_alu instid0(VALU_DEP_2) | instskip(NEXT) | instid1(VALU_DEP_2)
	v_mov_b64_e32 v[2:3], v[6:7]
	v_mov_b32_e32 v1, v9
.LBB13_4:                               ;   in Loop: Header=BB13_5 Depth=1
	s_or_b32 exec_lo, exec_lo, s2
	v_add_nc_u32_e32 v8, 0x400, v8
	v_add_nc_u64_e32 v[4:5], 0x4000, v[4:5]
	s_delay_alu instid0(VALU_DEP_2) | instskip(SKIP_1) | instid1(SALU_CYCLE_1)
	v_cmp_le_i32_e32 vcc_lo, s10, v8
	s_or_b32 s1, vcc_lo, s1
	s_and_not1_b32 exec_lo, exec_lo, s1
	s_cbranch_execz .LBB13_8
.LBB13_5:                               ; =>This Inner Loop Header: Depth=1
	global_load_b32 v9, v[4:5], off
	s_mov_b32 s2, exec_lo
	s_wait_loadcnt 0x0
	v_cmpx_ne_u32_e32 0, v9
	s_cbranch_execz .LBB13_4
; %bb.6:                                ;   in Loop: Header=BB13_5 Depth=1
	global_load_b64 v[6:7], v[4:5], off offset:8
	v_cmp_ne_u32_e64 s0, 0, v1
	s_wait_loadcnt 0x0
	v_cmp_nlt_f64_e32 vcc_lo, v[6:7], v[2:3]
	s_and_b32 s3, s0, vcc_lo
	s_delay_alu instid0(SALU_CYCLE_1)
	s_and_saveexec_b32 s0, s3
	s_cbranch_execz .LBB13_3
; %bb.7:                                ;   in Loop: Header=BB13_5 Depth=1
	v_cmp_eq_f64_e32 vcc_lo, v[2:3], v[6:7]
	v_min_i32_e32 v9, v9, v1
	v_mov_b64_e32 v[6:7], v[2:3]
	s_delay_alu instid0(VALU_DEP_2)
	v_cndmask_b32_e32 v9, v1, v9, vcc_lo
	s_branch .LBB13_3
.LBB13_8:
	s_or_b32 exec_lo, exec_lo, s1
.LBB13_9:
	s_delay_alu instid0(SALU_CYCLE_1)
	s_or_b32 exec_lo, exec_lo, s4
.LBB13_10:
	s_delay_alu instid0(SALU_CYCLE_1) | instskip(SKIP_2) | instid1(VALU_DEP_2)
	s_or_b32 exec_lo, exec_lo, s9
	v_and_b32_e32 v16, 31, v0
	v_cmp_gt_u32_e32 vcc_lo, 32, v0
	v_lshlrev_b32_e32 v10, 4, v16
	s_and_saveexec_b32 s0, vcc_lo
	s_cbranch_execz .LBB13_12
; %bb.11:
	v_mov_b64_e32 v[4:5], 0
	v_mov_b32_e32 v6, 0
	ds_store_b32 v10, v6
	ds_store_b64 v10, v[4:5] offset:8
.LBB13_12:
	s_or_b32 exec_lo, exec_lo, s0
	v_mbcnt_lo_u32_b32 v15, -1, 0
	s_wait_loadcnt 0x0
	v_mov_b64_e32 v[4:5], v[2:3]
	s_mov_b32 s2, exec_lo
	s_wait_dscnt 0x0
	s_barrier_signal -1
	v_lshl_or_b32 v11, v15, 2, 64
	s_barrier_wait -1
	ds_bpermute_b32 v8, v11, v1
	ds_bpermute_b32 v6, v11, v2
	;; [unrolled: 1-line block ×3, first 2 shown]
	s_wait_dscnt 0x2
	v_cmpx_ne_u32_e32 0, v8
	s_cbranch_execz .LBB13_16
; %bb.13:
	s_wait_dscnt 0x0
	v_cmp_ngt_f64_e64 s0, v[2:3], v[6:7]
	v_cmp_ne_u32_e64 s1, 0, v1
	v_mov_b64_e32 v[4:5], v[6:7]
	s_and_b32 s0, s1, s0
	s_delay_alu instid0(SALU_CYCLE_1)
	s_and_saveexec_b32 s1, s0
	s_cbranch_execz .LBB13_15
; %bb.14:
	v_cmp_eq_f64_e64 s0, v[2:3], v[6:7]
	v_dual_mov_b32 v6, v2 :: v_dual_min_i32 v8, v8, v1
	v_mov_b64_e32 v[4:5], v[2:3]
	s_delay_alu instid0(VALU_DEP_2)
	v_dual_mov_b32 v7, v3 :: v_dual_cndmask_b32 v8, v1, v8, s0
.LBB13_15:
	s_or_b32 exec_lo, exec_lo, s1
	s_delay_alu instid0(VALU_DEP_1) | instskip(NEXT) | instid1(VALU_DEP_2)
	v_dual_mov_b32 v3, v7 :: v_dual_mov_b32 v2, v6
	v_mov_b32_e32 v1, v8
.LBB13_16:
	s_or_b32 exec_lo, exec_lo, s2
	v_cmp_gt_u32_e64 s0, 24, v15
	s_mov_b32 s2, exec_lo
	s_wait_dscnt 0x1
	v_cndmask_b32_e64 v6, 0, 8, s0
	s_delay_alu instid0(VALU_DEP_1)
	v_add_lshl_u32 v12, v6, v15, 2
	ds_bpermute_b32 v13, v12, v1
	ds_bpermute_b32 v6, v12, v2
	s_wait_dscnt 0x2
	ds_bpermute_b32 v7, v12, v3
	s_wait_dscnt 0x2
	v_cmpx_ne_u32_e32 0, v13
	s_cbranch_execz .LBB13_20
; %bb.17:
	s_wait_dscnt 0x0
	v_cmp_ngt_f64_e64 s0, v[4:5], v[6:7]
	v_cmp_ne_u32_e64 s1, 0, v1
	v_mov_b64_e32 v[8:9], v[6:7]
	s_and_b32 s0, s1, s0
	s_delay_alu instid0(SALU_CYCLE_1)
	s_and_saveexec_b32 s1, s0
	s_cbranch_execz .LBB13_19
; %bb.18:
	v_cmp_eq_f64_e64 s0, v[4:5], v[6:7]
	v_dual_mov_b32 v6, v2 :: v_dual_min_i32 v13, v13, v1
	v_mov_b64_e32 v[8:9], v[4:5]
	s_delay_alu instid0(VALU_DEP_2)
	v_dual_mov_b32 v7, v3 :: v_dual_cndmask_b32 v13, v1, v13, s0
.LBB13_19:
	s_or_b32 exec_lo, exec_lo, s1
	s_delay_alu instid0(VALU_DEP_1) | instskip(NEXT) | instid1(VALU_DEP_2)
	v_mov_b64_e32 v[4:5], v[8:9]
	v_dual_mov_b32 v3, v7 :: v_dual_mov_b32 v2, v6
	s_delay_alu instid0(VALU_DEP_3)
	v_mov_b32_e32 v1, v13
.LBB13_20:
	s_or_b32 exec_lo, exec_lo, s2
	v_cmp_gt_u32_e64 s0, 28, v15
	s_mov_b32 s2, exec_lo
	s_wait_dscnt 0x1
	v_cndmask_b32_e64 v6, 0, 4, s0
	s_delay_alu instid0(VALU_DEP_1)
	v_add_lshl_u32 v13, v6, v15, 2
	ds_bpermute_b32 v14, v13, v1
	ds_bpermute_b32 v6, v13, v2
	s_wait_dscnt 0x2
	ds_bpermute_b32 v7, v13, v3
	s_wait_dscnt 0x2
	v_cmpx_ne_u32_e32 0, v14
	s_cbranch_execz .LBB13_24
; %bb.21:
	s_wait_dscnt 0x0
	v_cmp_ngt_f64_e64 s0, v[4:5], v[6:7]
	v_cmp_ne_u32_e64 s1, 0, v1
	v_mov_b64_e32 v[8:9], v[6:7]
	s_and_b32 s0, s1, s0
	s_delay_alu instid0(SALU_CYCLE_1)
	s_and_saveexec_b32 s1, s0
	s_cbranch_execz .LBB13_23
; %bb.22:
	v_cmp_eq_f64_e64 s0, v[4:5], v[6:7]
	v_dual_mov_b32 v7, v3 :: v_dual_min_i32 v14, v14, v1
	v_mov_b64_e32 v[8:9], v[4:5]
	s_delay_alu instid0(VALU_DEP_2)
	v_dual_mov_b32 v6, v2 :: v_dual_cndmask_b32 v14, v1, v14, s0
.LBB13_23:
	s_or_b32 exec_lo, exec_lo, s1
	s_delay_alu instid0(VALU_DEP_1) | instskip(NEXT) | instid1(VALU_DEP_2)
	v_mov_b64_e32 v[4:5], v[8:9]
	v_dual_mov_b32 v3, v7 :: v_dual_mov_b32 v2, v6
	s_delay_alu instid0(VALU_DEP_3)
	v_mov_b32_e32 v1, v14
.LBB13_24:
	s_or_b32 exec_lo, exec_lo, s2
	v_cmp_gt_u32_e64 s0, 30, v15
	s_mov_b32 s2, exec_lo
	s_wait_dscnt 0x1
	v_cndmask_b32_e64 v6, 0, 2, s0
	s_delay_alu instid0(VALU_DEP_1)
	v_add_lshl_u32 v14, v6, v15, 2
	ds_bpermute_b32 v17, v14, v1
	ds_bpermute_b32 v6, v14, v2
	s_wait_dscnt 0x2
	ds_bpermute_b32 v7, v14, v3
	s_wait_dscnt 0x2
	v_cmpx_ne_u32_e32 0, v17
	s_cbranch_execz .LBB13_28
; %bb.25:
	s_wait_dscnt 0x0
	v_cmp_ngt_f64_e64 s0, v[4:5], v[6:7]
	v_cmp_ne_u32_e64 s1, 0, v1
	v_mov_b64_e32 v[8:9], v[6:7]
	s_and_b32 s0, s1, s0
	s_delay_alu instid0(SALU_CYCLE_1)
	s_and_saveexec_b32 s1, s0
	s_cbranch_execz .LBB13_27
; %bb.26:
	v_cmp_eq_f64_e64 s0, v[4:5], v[6:7]
	v_dual_mov_b32 v6, v2 :: v_dual_min_i32 v17, v17, v1
	v_mov_b64_e32 v[8:9], v[4:5]
	s_delay_alu instid0(VALU_DEP_2)
	v_dual_mov_b32 v7, v3 :: v_dual_cndmask_b32 v17, v1, v17, s0
.LBB13_27:
	s_or_b32 exec_lo, exec_lo, s1
	s_delay_alu instid0(VALU_DEP_1) | instskip(NEXT) | instid1(VALU_DEP_2)
	v_mov_b64_e32 v[4:5], v[8:9]
	v_dual_mov_b32 v3, v7 :: v_dual_mov_b32 v2, v6
	s_delay_alu instid0(VALU_DEP_3)
	v_mov_b32_e32 v1, v17
.LBB13_28:
	s_or_b32 exec_lo, exec_lo, s2
	v_cmp_ne_u32_e64 s0, 31, v15
	s_mov_b32 s3, exec_lo
	s_wait_dscnt 0x1
	v_add_co_ci_u32_e64 v6, null, 0, v15, s0
	s_delay_alu instid0(VALU_DEP_1)
	v_lshlrev_b32_e32 v15, 2, v6
	ds_bpermute_b32 v6, v15, v1
	ds_bpermute_b32 v2, v15, v2
	;; [unrolled: 1-line block ×3, first 2 shown]
	s_wait_dscnt 0x2
	v_cmpx_ne_u32_e32 0, v6
	s_cbranch_execz .LBB13_30
; %bb.29:
	s_wait_dscnt 0x0
	v_cmp_gt_f64_e64 s0, v[4:5], v[2:3]
	v_cmp_eq_f64_e64 s2, v[4:5], v[2:3]
	v_cmp_eq_u32_e64 s1, 0, v1
	s_or_b32 s0, s1, s0
	s_delay_alu instid0(SALU_CYCLE_1) | instskip(NEXT) | instid1(VALU_DEP_1)
	v_dual_cndmask_b32 v5, v5, v3, s0 :: v_dual_min_i32 v7, v6, v1
	v_dual_cndmask_b32 v4, v4, v2, s0 :: v_dual_cndmask_b32 v1, v1, v7, s2
	s_delay_alu instid0(VALU_DEP_1)
	v_cndmask_b32_e64 v1, v1, v6, s0
.LBB13_30:
	s_or_b32 exec_lo, exec_lo, s3
	s_delay_alu instid0(SALU_CYCLE_1)
	s_mov_b32 s1, exec_lo
	v_cmpx_eq_u32_e32 0, v16
	s_cbranch_execz .LBB13_32
; %bb.31:
	s_wait_dscnt 0x1
	v_lshrrev_b32_e32 v2, 1, v0
	s_delay_alu instid0(VALU_DEP_1)
	v_and_b32_e32 v2, 0x1f0, v2
	ds_store_b32 v2, v1
	ds_store_b64 v2, v[4:5] offset:8
.LBB13_32:
	s_or_b32 exec_lo, exec_lo, s1
	s_wait_dscnt 0x0
	v_mov_b64_e32 v[2:3], 0
	v_mov_b32_e32 v1, 0
	s_barrier_signal -1
	s_barrier_wait -1
	s_and_saveexec_b32 s0, vcc_lo
	s_cbranch_execz .LBB13_34
; %bb.33:
	ds_load_b32 v1, v10
	ds_load_b64 v[2:3], v10 offset:8
.LBB13_34:
	s_or_b32 exec_lo, exec_lo, s0
	s_and_saveexec_b32 s2, vcc_lo
	s_cbranch_execz .LBB13_54
; %bb.35:
	s_wait_dscnt 0x1
	ds_bpermute_b32 v8, v11, v1
	s_wait_dscnt 0x1
	ds_bpermute_b32 v6, v11, v2
	ds_bpermute_b32 v7, v11, v3
	v_mov_b64_e32 v[4:5], v[2:3]
	s_mov_b32 s1, exec_lo
	s_wait_dscnt 0x2
	v_cmpx_ne_u32_e32 0, v8
	s_cbranch_execz .LBB13_39
; %bb.36:
	s_wait_dscnt 0x0
	v_cmp_ngt_f64_e32 vcc_lo, v[2:3], v[6:7]
	v_cmp_ne_u32_e64 s0, 0, v1
	v_mov_b64_e32 v[4:5], v[6:7]
	s_and_b32 s3, s0, vcc_lo
	s_delay_alu instid0(SALU_CYCLE_1)
	s_and_saveexec_b32 s0, s3
	s_cbranch_execz .LBB13_38
; %bb.37:
	v_cmp_eq_f64_e32 vcc_lo, v[2:3], v[6:7]
	v_dual_mov_b32 v6, v2 :: v_dual_min_i32 v8, v8, v1
	v_mov_b64_e32 v[4:5], v[2:3]
	s_delay_alu instid0(VALU_DEP_2)
	v_dual_mov_b32 v7, v3 :: v_dual_cndmask_b32 v8, v1, v8
.LBB13_38:
	s_or_b32 exec_lo, exec_lo, s0
	s_delay_alu instid0(VALU_DEP_1) | instskip(NEXT) | instid1(VALU_DEP_2)
	v_dual_mov_b32 v3, v7 :: v_dual_mov_b32 v2, v6
	v_mov_b32_e32 v1, v8
.LBB13_39:
	s_or_b32 exec_lo, exec_lo, s1
	ds_bpermute_b32 v10, v12, v1
	s_wait_dscnt 0x2
	ds_bpermute_b32 v6, v12, v2
	s_wait_dscnt 0x2
	ds_bpermute_b32 v7, v12, v3
	s_mov_b32 s1, exec_lo
	s_wait_dscnt 0x2
	v_cmpx_ne_u32_e32 0, v10
	s_cbranch_execz .LBB13_43
; %bb.40:
	s_wait_dscnt 0x0
	v_cmp_ngt_f64_e32 vcc_lo, v[4:5], v[6:7]
	v_cmp_ne_u32_e64 s0, 0, v1
	v_mov_b64_e32 v[8:9], v[6:7]
	s_and_b32 s3, s0, vcc_lo
	s_delay_alu instid0(SALU_CYCLE_1)
	s_and_saveexec_b32 s0, s3
	s_cbranch_execz .LBB13_42
; %bb.41:
	v_cmp_eq_f64_e32 vcc_lo, v[4:5], v[6:7]
	v_dual_mov_b32 v7, v3 :: v_dual_min_i32 v10, v10, v1
	v_mov_b64_e32 v[8:9], v[4:5]
	s_delay_alu instid0(VALU_DEP_2)
	v_dual_mov_b32 v6, v2 :: v_dual_cndmask_b32 v10, v1, v10, vcc_lo
.LBB13_42:
	s_or_b32 exec_lo, exec_lo, s0
	s_delay_alu instid0(VALU_DEP_1) | instskip(NEXT) | instid1(VALU_DEP_2)
	v_mov_b64_e32 v[4:5], v[8:9]
	v_dual_mov_b32 v3, v7 :: v_dual_mov_b32 v2, v6
	s_delay_alu instid0(VALU_DEP_3)
	v_mov_b32_e32 v1, v10
.LBB13_43:
	s_or_b32 exec_lo, exec_lo, s1
	ds_bpermute_b32 v10, v13, v1
	s_wait_dscnt 0x2
	ds_bpermute_b32 v6, v13, v2
	s_wait_dscnt 0x2
	ds_bpermute_b32 v7, v13, v3
	s_mov_b32 s1, exec_lo
	s_wait_dscnt 0x2
	v_cmpx_ne_u32_e32 0, v10
	s_cbranch_execz .LBB13_47
; %bb.44:
	s_wait_dscnt 0x0
	v_cmp_ngt_f64_e32 vcc_lo, v[4:5], v[6:7]
	v_cmp_ne_u32_e64 s0, 0, v1
	v_mov_b64_e32 v[8:9], v[6:7]
	s_and_b32 s3, s0, vcc_lo
	s_delay_alu instid0(SALU_CYCLE_1)
	s_and_saveexec_b32 s0, s3
	s_cbranch_execz .LBB13_46
; %bb.45:
	v_cmp_eq_f64_e32 vcc_lo, v[4:5], v[6:7]
	v_dual_mov_b32 v7, v3 :: v_dual_min_i32 v10, v10, v1
	v_mov_b64_e32 v[8:9], v[4:5]
	s_delay_alu instid0(VALU_DEP_2)
	v_dual_mov_b32 v6, v2 :: v_dual_cndmask_b32 v10, v1, v10, vcc_lo
.LBB13_46:
	s_or_b32 exec_lo, exec_lo, s0
	s_delay_alu instid0(VALU_DEP_1) | instskip(NEXT) | instid1(VALU_DEP_2)
	v_mov_b64_e32 v[4:5], v[8:9]
	v_dual_mov_b32 v3, v7 :: v_dual_mov_b32 v2, v6
	s_delay_alu instid0(VALU_DEP_3)
	v_mov_b32_e32 v1, v10
.LBB13_47:
	;; [unrolled: 33-line block ×3, first 2 shown]
	s_or_b32 exec_lo, exec_lo, s1
	s_wait_dscnt 0x1
	ds_bpermute_b32 v6, v15, v1
	ds_bpermute_b32 v2, v15, v2
	;; [unrolled: 1-line block ×3, first 2 shown]
	s_mov_b32 s3, exec_lo
	s_wait_dscnt 0x2
	v_cmpx_ne_u32_e32 0, v6
	s_cbranch_execz .LBB13_53
; %bb.52:
	s_wait_dscnt 0x0
	v_cmp_gt_f64_e32 vcc_lo, v[4:5], v[2:3]
	v_cmp_eq_f64_e64 s1, v[4:5], v[2:3]
	v_cmp_eq_u32_e64 s0, 0, v1
	s_or_b32 vcc_lo, s0, vcc_lo
	v_min_i32_e32 v7, v6, v1
	s_delay_alu instid0(VALU_DEP_1) | instskip(NEXT) | instid1(VALU_DEP_1)
	v_cndmask_b32_e64 v1, v1, v7, s1
	v_cndmask_b32_e32 v1, v1, v6, vcc_lo
.LBB13_53:
	s_or_b32 exec_lo, exec_lo, s3
.LBB13_54:
	s_delay_alu instid0(SALU_CYCLE_1) | instskip(NEXT) | instid1(SALU_CYCLE_1)
	s_or_b32 exec_lo, exec_lo, s2
	s_mov_b32 s0, exec_lo
	v_cmpx_eq_u32_e32 0, v0
	s_cbranch_execz .LBB13_56
; %bb.55:
	s_bfe_u32 s0, ttmp6, 0x4000c
	s_and_b32 s1, ttmp6, 15
	s_add_co_i32 s0, s0, 1
	s_delay_alu instid0(SALU_CYCLE_1) | instskip(NEXT) | instid1(SALU_CYCLE_1)
	s_mul_i32 s0, ttmp9, s0
	s_add_co_i32 s1, s1, s0
	s_cmp_eq_u32 s8, 0
	s_cselect_b32 s0, ttmp9, s1
	s_delay_alu instid0(SALU_CYCLE_1)
	v_mov_b32_e32 v0, s0
	s_wait_dscnt 0x1
	global_store_b32 v0, v1, s[6:7] scale_offset
.LBB13_56:
	s_endpgm
	.section	.rodata,"a",@progbits
	.p2align	6, 0x0
	.amdhsa_kernel _ZL32rocblas_iamax_iamin_kernel_part2ILi1024E19rocblas_reduce_amin21rocblas_index_value_tIdEiEviPT1_PT2_
		.amdhsa_group_segment_fixed_size 512
		.amdhsa_private_segment_fixed_size 0
		.amdhsa_kernarg_size 24
		.amdhsa_user_sgpr_count 2
		.amdhsa_user_sgpr_dispatch_ptr 0
		.amdhsa_user_sgpr_queue_ptr 0
		.amdhsa_user_sgpr_kernarg_segment_ptr 1
		.amdhsa_user_sgpr_dispatch_id 0
		.amdhsa_user_sgpr_kernarg_preload_length 0
		.amdhsa_user_sgpr_kernarg_preload_offset 0
		.amdhsa_user_sgpr_private_segment_size 0
		.amdhsa_wavefront_size32 1
		.amdhsa_uses_dynamic_stack 0
		.amdhsa_enable_private_segment 0
		.amdhsa_system_sgpr_workgroup_id_x 1
		.amdhsa_system_sgpr_workgroup_id_y 0
		.amdhsa_system_sgpr_workgroup_id_z 0
		.amdhsa_system_sgpr_workgroup_info 0
		.amdhsa_system_vgpr_workitem_id 0
		.amdhsa_next_free_vgpr 18
		.amdhsa_next_free_sgpr 11
		.amdhsa_named_barrier_count 0
		.amdhsa_reserve_vcc 1
		.amdhsa_float_round_mode_32 0
		.amdhsa_float_round_mode_16_64 0
		.amdhsa_float_denorm_mode_32 3
		.amdhsa_float_denorm_mode_16_64 3
		.amdhsa_fp16_overflow 0
		.amdhsa_memory_ordered 1
		.amdhsa_forward_progress 1
		.amdhsa_inst_pref_size 17
		.amdhsa_round_robin_scheduling 0
		.amdhsa_exception_fp_ieee_invalid_op 0
		.amdhsa_exception_fp_denorm_src 0
		.amdhsa_exception_fp_ieee_div_zero 0
		.amdhsa_exception_fp_ieee_overflow 0
		.amdhsa_exception_fp_ieee_underflow 0
		.amdhsa_exception_fp_ieee_inexact 0
		.amdhsa_exception_int_div_zero 0
	.end_amdhsa_kernel
	.section	.text._ZL32rocblas_iamax_iamin_kernel_part2ILi1024E19rocblas_reduce_amin21rocblas_index_value_tIdEiEviPT1_PT2_,"axG",@progbits,_ZL32rocblas_iamax_iamin_kernel_part2ILi1024E19rocblas_reduce_amin21rocblas_index_value_tIdEiEviPT1_PT2_,comdat
.Lfunc_end13:
	.size	_ZL32rocblas_iamax_iamin_kernel_part2ILi1024E19rocblas_reduce_amin21rocblas_index_value_tIdEiEviPT1_PT2_, .Lfunc_end13-_ZL32rocblas_iamax_iamin_kernel_part2ILi1024E19rocblas_reduce_amin21rocblas_index_value_tIdEiEviPT1_PT2_
                                        ; -- End function
	.set _ZL32rocblas_iamax_iamin_kernel_part2ILi1024E19rocblas_reduce_amin21rocblas_index_value_tIdEiEviPT1_PT2_.num_vgpr, 18
	.set _ZL32rocblas_iamax_iamin_kernel_part2ILi1024E19rocblas_reduce_amin21rocblas_index_value_tIdEiEviPT1_PT2_.num_agpr, 0
	.set _ZL32rocblas_iamax_iamin_kernel_part2ILi1024E19rocblas_reduce_amin21rocblas_index_value_tIdEiEviPT1_PT2_.numbered_sgpr, 11
	.set _ZL32rocblas_iamax_iamin_kernel_part2ILi1024E19rocblas_reduce_amin21rocblas_index_value_tIdEiEviPT1_PT2_.num_named_barrier, 0
	.set _ZL32rocblas_iamax_iamin_kernel_part2ILi1024E19rocblas_reduce_amin21rocblas_index_value_tIdEiEviPT1_PT2_.private_seg_size, 0
	.set _ZL32rocblas_iamax_iamin_kernel_part2ILi1024E19rocblas_reduce_amin21rocblas_index_value_tIdEiEviPT1_PT2_.uses_vcc, 1
	.set _ZL32rocblas_iamax_iamin_kernel_part2ILi1024E19rocblas_reduce_amin21rocblas_index_value_tIdEiEviPT1_PT2_.uses_flat_scratch, 0
	.set _ZL32rocblas_iamax_iamin_kernel_part2ILi1024E19rocblas_reduce_amin21rocblas_index_value_tIdEiEviPT1_PT2_.has_dyn_sized_stack, 0
	.set _ZL32rocblas_iamax_iamin_kernel_part2ILi1024E19rocblas_reduce_amin21rocblas_index_value_tIdEiEviPT1_PT2_.has_recursion, 0
	.set _ZL32rocblas_iamax_iamin_kernel_part2ILi1024E19rocblas_reduce_amin21rocblas_index_value_tIdEiEviPT1_PT2_.has_indirect_call, 0
	.section	.AMDGPU.csdata,"",@progbits
; Kernel info:
; codeLenInByte = 2160
; TotalNumSgprs: 13
; NumVgprs: 18
; ScratchSize: 0
; MemoryBound: 0
; FloatMode: 240
; IeeeMode: 1
; LDSByteSize: 512 bytes/workgroup (compile time only)
; SGPRBlocks: 0
; VGPRBlocks: 1
; NumSGPRsForWavesPerEU: 13
; NumVGPRsForWavesPerEU: 18
; NamedBarCnt: 0
; Occupancy: 16
; WaveLimiterHint : 0
; COMPUTE_PGM_RSRC2:SCRATCH_EN: 0
; COMPUTE_PGM_RSRC2:USER_SGPR: 2
; COMPUTE_PGM_RSRC2:TRAP_HANDLER: 0
; COMPUTE_PGM_RSRC2:TGID_X_EN: 1
; COMPUTE_PGM_RSRC2:TGID_Y_EN: 0
; COMPUTE_PGM_RSRC2:TGID_Z_EN: 0
; COMPUTE_PGM_RSRC2:TIDIG_COMP_CNT: 0
	.section	.text._ZL32rocblas_iamax_iamin_kernel_part1ILi1024E23rocblas_fetch_amax_aminIfE19rocblas_reduce_aminPK19rocblas_complex_numIfE21rocblas_index_value_tIfEEviiT2_liliPT3_,"axG",@progbits,_ZL32rocblas_iamax_iamin_kernel_part1ILi1024E23rocblas_fetch_amax_aminIfE19rocblas_reduce_aminPK19rocblas_complex_numIfE21rocblas_index_value_tIfEEviiT2_liliPT3_,comdat
	.globl	_ZL32rocblas_iamax_iamin_kernel_part1ILi1024E23rocblas_fetch_amax_aminIfE19rocblas_reduce_aminPK19rocblas_complex_numIfE21rocblas_index_value_tIfEEviiT2_liliPT3_ ; -- Begin function _ZL32rocblas_iamax_iamin_kernel_part1ILi1024E23rocblas_fetch_amax_aminIfE19rocblas_reduce_aminPK19rocblas_complex_numIfE21rocblas_index_value_tIfEEviiT2_liliPT3_
	.p2align	8
	.type	_ZL32rocblas_iamax_iamin_kernel_part1ILi1024E23rocblas_fetch_amax_aminIfE19rocblas_reduce_aminPK19rocblas_complex_numIfE21rocblas_index_value_tIfEEviiT2_liliPT3_,@function
_ZL32rocblas_iamax_iamin_kernel_part1ILi1024E23rocblas_fetch_amax_aminIfE19rocblas_reduce_aminPK19rocblas_complex_numIfE21rocblas_index_value_tIfEEviiT2_liliPT3_: ; @_ZL32rocblas_iamax_iamin_kernel_part1ILi1024E23rocblas_fetch_amax_aminIfE19rocblas_reduce_aminPK19rocblas_complex_numIfE21rocblas_index_value_tIfEEviiT2_liliPT3_
; %bb.0:
	s_load_b32 s14, s[0:1], 0x28
	s_bfe_u32 s2, ttmp6, 0x40014
	s_lshr_b32 s3, ttmp7, 16
	s_add_co_i32 s2, s2, 1
	s_bfe_u32 s5, ttmp6, 0x40008
	s_mul_i32 s4, s3, s2
	s_getreg_b32 s2, hwreg(HW_REG_IB_STS2, 6, 4)
	s_add_co_i32 s5, s5, s4
	s_cmp_eq_u32 s2, 0
	s_mov_b32 s9, 0
	s_cselect_b32 s8, s3, s5
	s_wait_kmcnt 0x0
	s_cmp_ge_u32 s8, s14
	s_cbranch_scc1 .LBB14_47
; %bb.1:
	s_clause 0x1
	s_load_b32 s16, s[0:1], 0x18
	s_load_b128 s[4:7], s[0:1], 0x8
	s_bfe_u32 s3, ttmp6, 0x4000c
	s_and_b32 s15, ttmp6, 15
	s_add_co_i32 s3, s3, 1
	v_dual_mov_b32 v3, 0 :: v_dual_bitop2_b32 v8, 31, v0 bitop3:0x40
	s_mul_i32 s3, ttmp9, s3
	v_mbcnt_lo_u32_b32 v11, -1, 0
	s_add_co_i32 s15, s15, s3
	s_clause 0x1
	s_load_b64 s[10:11], s[0:1], 0x20
	s_load_b64 s[12:13], s[0:1], 0x30
	v_cmp_gt_u32_e32 vcc_lo, 32, v0
	v_lshl_or_b32 v7, v11, 2, 64
	s_wait_kmcnt 0x0
	s_ashr_i32 s17, s16, 31
	s_lshl_b64 s[6:7], s[6:7], 3
	s_cmp_eq_u32 s2, 0
	s_load_b64 s[2:3], s[0:1], 0x0
	s_cselect_b32 s15, ttmp9, s15
	s_wait_xcnt 0x0
	v_cmp_gt_u32_e64 s1, 24, v11
	v_lshl_or_b32 v2, s15, 10, v0
	v_cmp_eq_u32_e64 s0, 0, v0
	s_add_nc_u64 s[4:5], s[4:5], s[6:7]
	v_lshlrev_b32_e32 v6, 3, v8
	v_cndmask_b32_e64 v10, 0, 8, s1
	v_mul_u64_e32 v[4:5], s[16:17], v[2:3]
	v_cmp_gt_u32_e64 s1, 28, v11
	s_delay_alu instid0(VALU_DEP_1) | instskip(SKIP_1) | instid1(VALU_DEP_1)
	v_cndmask_b32_e64 v12, 0, 4, s1
	v_cmp_gt_u32_e64 s1, 30, v11
	v_cndmask_b32_e64 v13, 0, 2, s1
	v_cmp_ne_u32_e64 s1, 31, v11
	s_wait_kmcnt 0x0
	s_mov_b32 s16, s2
	s_ashr_i32 s17, s2, 31
	s_lshl_b32 s7, s3, 16
	v_cmp_gt_i64_e64 s2, s[16:17], v[2:3]
	v_add_co_ci_u32_e64 v14, null, 0, v11, s1
	v_lshrrev_b32_e32 v9, 2, v0
	v_mov_b64_e32 v[0:1], 0
	v_cmp_eq_u32_e64 s1, 0, v8
	s_delay_alu instid0(VALU_DEP_3)
	v_and_b32_e32 v8, 0xf8, v9
	v_add_lshl_u32 v9, v10, v11, 2
	v_add_lshl_u32 v10, v12, v11, 2
	v_add_lshl_u32 v11, v13, v11, 2
	v_lshlrev_b32_e32 v12, 2, v14
	v_add_nc_u32_e32 v13, 1, v2
	v_lshl_add_u64 v[2:3], v[4:5], 3, s[4:5]
	s_mul_i32 s4, s8, s3
	s_delay_alu instid0(SALU_CYCLE_1)
	s_add_co_i32 s6, s15, s4
	s_branch .LBB14_3
.LBB14_2:                               ;   in Loop: Header=BB14_3 Depth=1
	s_wait_xcnt 0x0
	s_or_b32 exec_lo, exec_lo, s3
	s_add_co_i32 s8, s8, 0x10000
	s_add_co_i32 s6, s6, s7
	s_cmp_lt_u32 s8, s14
	s_cbranch_scc0 .LBB14_47
.LBB14_3:                               ; =>This Inner Loop Header: Depth=1
	s_wait_dscnt 0x0
	v_mov_b32_e32 v4, 0
	s_and_saveexec_b32 s4, s2
	s_cbranch_execz .LBB14_5
; %bb.4:                                ;   in Loop: Header=BB14_3 Depth=1
	s_mul_u64 s[16:17], s[10:11], s[8:9]
	s_delay_alu instid0(SALU_CYCLE_1) | instskip(SKIP_4) | instid1(VALU_DEP_1)
	v_lshl_add_u64 v[4:5], s[16:17], 3, v[2:3]
	global_load_b64 v[4:5], v[4:5], off
	s_wait_loadcnt 0x0
	v_cmp_gt_f32_e64 s3, 0, v5
	s_wait_xcnt 0x0
	v_cndmask_b32_e64 v5, v5, -v5, s3
	v_cmp_gt_f32_e64 s3, 0, v4
	s_delay_alu instid0(VALU_DEP_1) | instskip(NEXT) | instid1(VALU_DEP_1)
	v_cndmask_b32_e64 v4, v4, -v4, s3
	v_dual_add_f32 v5, v4, v5 :: v_dual_mov_b32 v4, v13
.LBB14_5:                               ;   in Loop: Header=BB14_3 Depth=1
	s_or_b32 exec_lo, exec_lo, s4
	s_and_saveexec_b32 s3, vcc_lo
; %bb.6:                                ;   in Loop: Header=BB14_3 Depth=1
	ds_store_b64 v6, v[0:1]
; %bb.7:                                ;   in Loop: Header=BB14_3 Depth=1
	s_or_b32 exec_lo, exec_lo, s3
	ds_bpermute_b32 v14, v7, v4
	ds_bpermute_b32 v15, v7, v5
	s_mov_b32 s15, exec_lo
	s_wait_dscnt 0x0
	s_barrier_signal -1
	s_barrier_wait -1
	v_cmpx_ne_u32_e32 0, v14
; %bb.8:                                ;   in Loop: Header=BB14_3 Depth=1
	v_cmp_eq_u32_e64 s3, 0, v4
	v_cmp_gt_f32_e64 s4, v5, v15
	v_cmp_eq_f32_e64 s5, v5, v15
	s_or_b32 s3, s3, s4
	s_delay_alu instid0(SALU_CYCLE_1) | instskip(NEXT) | instid1(VALU_DEP_1)
	v_dual_cndmask_b32 v5, v5, v15, s3 :: v_dual_min_i32 v16, v14, v4
	v_cndmask_b32_e64 v4, v4, v16, s5
	s_delay_alu instid0(VALU_DEP_1)
	v_cndmask_b32_e64 v4, v4, v14, s3
; %bb.9:                                ;   in Loop: Header=BB14_3 Depth=1
	s_or_b32 exec_lo, exec_lo, s15
	ds_bpermute_b32 v15, v9, v4
	ds_bpermute_b32 v16, v9, v5
	v_mov_b32_e32 v14, v5
	s_mov_b32 s5, exec_lo
	s_wait_dscnt 0x1
	v_cmpx_ne_u32_e32 0, v15
	s_cbranch_execz .LBB14_13
; %bb.10:                               ;   in Loop: Header=BB14_3 Depth=1
	v_cmp_ne_u32_e64 s3, 0, v4
	s_wait_dscnt 0x0
	v_cmp_ngt_f32_e64 s4, v5, v16
	s_and_b32 s3, s3, s4
	s_delay_alu instid0(SALU_CYCLE_1)
	s_and_saveexec_b32 s4, s3
; %bb.11:                               ;   in Loop: Header=BB14_3 Depth=1
	v_min_i32_e32 v14, v15, v4
	v_cmp_eq_f32_e64 s3, v5, v16
	s_delay_alu instid0(VALU_DEP_1)
	v_dual_mov_b32 v16, v5 :: v_dual_cndmask_b32 v15, v4, v14, s3
; %bb.12:                               ;   in Loop: Header=BB14_3 Depth=1
	s_or_b32 exec_lo, exec_lo, s4
	s_delay_alu instid0(VALU_DEP_1)
	v_dual_mov_b32 v5, v16 :: v_dual_mov_b32 v4, v15
	v_mov_b32_e32 v14, v16
.LBB14_13:                              ;   in Loop: Header=BB14_3 Depth=1
	s_or_b32 exec_lo, exec_lo, s5
	ds_bpermute_b32 v15, v10, v4
	s_wait_dscnt 0x1
	ds_bpermute_b32 v16, v10, v5
	s_mov_b32 s5, exec_lo
	s_wait_dscnt 0x1
	v_cmpx_ne_u32_e32 0, v15
	s_cbranch_execz .LBB14_17
; %bb.14:                               ;   in Loop: Header=BB14_3 Depth=1
	v_cmp_ne_u32_e64 s3, 0, v4
	s_wait_dscnt 0x0
	v_cmp_ngt_f32_e64 s4, v14, v16
	v_mov_b32_e32 v17, v16
	s_and_b32 s3, s3, s4
	s_delay_alu instid0(SALU_CYCLE_1)
	s_and_saveexec_b32 s4, s3
; %bb.15:                               ;   in Loop: Header=BB14_3 Depth=1
	v_dual_mov_b32 v17, v14 :: v_dual_min_i32 v15, v15, v4
	v_cmp_eq_f32_e64 s3, v14, v16
	s_delay_alu instid0(VALU_DEP_1)
	v_dual_mov_b32 v16, v5 :: v_dual_cndmask_b32 v15, v4, v15, s3
; %bb.16:                               ;   in Loop: Header=BB14_3 Depth=1
	s_or_b32 exec_lo, exec_lo, s4
	s_delay_alu instid0(VALU_DEP_1)
	v_dual_mov_b32 v5, v16 :: v_dual_mov_b32 v4, v15
	v_mov_b32_e32 v14, v17
.LBB14_17:                              ;   in Loop: Header=BB14_3 Depth=1
	s_or_b32 exec_lo, exec_lo, s5
	ds_bpermute_b32 v15, v11, v4
	s_wait_dscnt 0x1
	ds_bpermute_b32 v16, v11, v5
	s_mov_b32 s5, exec_lo
	s_wait_dscnt 0x1
	v_cmpx_ne_u32_e32 0, v15
	s_cbranch_execz .LBB14_21
; %bb.18:                               ;   in Loop: Header=BB14_3 Depth=1
	v_cmp_ne_u32_e64 s3, 0, v4
	s_wait_dscnt 0x0
	v_cmp_ngt_f32_e64 s4, v14, v16
	v_mov_b32_e32 v17, v16
	s_and_b32 s3, s3, s4
	s_delay_alu instid0(SALU_CYCLE_1)
	s_and_saveexec_b32 s4, s3
; %bb.19:                               ;   in Loop: Header=BB14_3 Depth=1
	v_dual_mov_b32 v17, v14 :: v_dual_min_i32 v15, v15, v4
	v_cmp_eq_f32_e64 s3, v14, v16
	s_delay_alu instid0(VALU_DEP_1)
	v_dual_mov_b32 v16, v5 :: v_dual_cndmask_b32 v15, v4, v15, s3
; %bb.20:                               ;   in Loop: Header=BB14_3 Depth=1
	s_or_b32 exec_lo, exec_lo, s4
	s_delay_alu instid0(VALU_DEP_1)
	v_dual_mov_b32 v5, v16 :: v_dual_mov_b32 v4, v15
	v_mov_b32_e32 v14, v17
.LBB14_21:                              ;   in Loop: Header=BB14_3 Depth=1
	s_or_b32 exec_lo, exec_lo, s5
	ds_bpermute_b32 v15, v12, v4
	s_wait_dscnt 0x1
	ds_bpermute_b32 v16, v12, v5
	s_mov_b32 s15, exec_lo
	s_wait_dscnt 0x1
	v_cmpx_ne_u32_e32 0, v15
	s_cbranch_execz .LBB14_23
; %bb.22:                               ;   in Loop: Header=BB14_3 Depth=1
	v_cmp_eq_u32_e64 s3, 0, v4
	s_wait_dscnt 0x0
	v_cmp_gt_f32_e64 s4, v14, v16
	v_cmp_eq_f32_e64 s5, v14, v16
	s_or_b32 s3, s3, s4
	v_min_i32_e32 v17, v15, v4
	s_delay_alu instid0(VALU_DEP_1) | instskip(NEXT) | instid1(VALU_DEP_1)
	v_dual_cndmask_b32 v5, v5, v16, s3 :: v_dual_cndmask_b32 v4, v4, v17, s5
	v_cndmask_b32_e64 v4, v4, v15, s3
.LBB14_23:                              ;   in Loop: Header=BB14_3 Depth=1
	s_or_b32 exec_lo, exec_lo, s15
	s_and_saveexec_b32 s3, s1
; %bb.24:                               ;   in Loop: Header=BB14_3 Depth=1
	ds_store_b64 v8, v[4:5]
; %bb.25:                               ;   in Loop: Header=BB14_3 Depth=1
	s_or_b32 exec_lo, exec_lo, s3
	v_dual_mov_b32 v4, 0 :: v_dual_mov_b32 v5, 0
	s_wait_dscnt 0x0
	s_barrier_signal -1
	s_barrier_wait -1
	s_and_saveexec_b32 s3, vcc_lo
	s_cbranch_execnz .LBB14_28
; %bb.26:                               ;   in Loop: Header=BB14_3 Depth=1
	s_or_b32 exec_lo, exec_lo, s3
	s_and_saveexec_b32 s15, vcc_lo
	s_cbranch_execnz .LBB14_29
.LBB14_27:                              ;   in Loop: Header=BB14_3 Depth=1
	s_or_b32 exec_lo, exec_lo, s15
	s_and_saveexec_b32 s3, s0
	s_cbranch_execz .LBB14_2
	s_branch .LBB14_46
.LBB14_28:                              ;   in Loop: Header=BB14_3 Depth=1
	ds_load_b64 v[4:5], v6
	s_or_b32 exec_lo, exec_lo, s3
	s_and_saveexec_b32 s15, vcc_lo
	s_cbranch_execz .LBB14_27
.LBB14_29:                              ;   in Loop: Header=BB14_3 Depth=1
	s_wait_dscnt 0x0
	ds_bpermute_b32 v14, v7, v4
	ds_bpermute_b32 v15, v7, v5
	s_mov_b32 s16, exec_lo
	s_wait_dscnt 0x1
	v_cmpx_ne_u32_e32 0, v14
	s_cbranch_execz .LBB14_31
; %bb.30:                               ;   in Loop: Header=BB14_3 Depth=1
	v_cmp_eq_u32_e64 s3, 0, v4
	s_wait_dscnt 0x0
	v_cmp_gt_f32_e64 s4, v5, v15
	v_cmp_eq_f32_e64 s5, v5, v15
	s_or_b32 s3, s3, s4
	s_delay_alu instid0(SALU_CYCLE_1) | instskip(NEXT) | instid1(VALU_DEP_1)
	v_dual_cndmask_b32 v5, v5, v15, s3 :: v_dual_min_i32 v16, v14, v4
	v_cndmask_b32_e64 v4, v4, v16, s5
	s_delay_alu instid0(VALU_DEP_1)
	v_cndmask_b32_e64 v4, v4, v14, s3
.LBB14_31:                              ;   in Loop: Header=BB14_3 Depth=1
	s_or_b32 exec_lo, exec_lo, s16
	s_wait_dscnt 0x0
	ds_bpermute_b32 v15, v9, v4
	ds_bpermute_b32 v16, v9, v5
	v_mov_b32_e32 v14, v5
	s_mov_b32 s5, exec_lo
	s_wait_dscnt 0x1
	v_cmpx_ne_u32_e32 0, v15
	s_cbranch_execz .LBB14_35
; %bb.32:                               ;   in Loop: Header=BB14_3 Depth=1
	v_cmp_ne_u32_e64 s3, 0, v4
	s_wait_dscnt 0x0
	v_cmp_ngt_f32_e64 s4, v5, v16
	s_and_b32 s3, s3, s4
	s_delay_alu instid0(SALU_CYCLE_1)
	s_and_saveexec_b32 s4, s3
; %bb.33:                               ;   in Loop: Header=BB14_3 Depth=1
	v_min_i32_e32 v14, v15, v4
	v_cmp_eq_f32_e64 s3, v5, v16
	s_delay_alu instid0(VALU_DEP_1)
	v_dual_mov_b32 v16, v5 :: v_dual_cndmask_b32 v15, v4, v14, s3
; %bb.34:                               ;   in Loop: Header=BB14_3 Depth=1
	s_or_b32 exec_lo, exec_lo, s4
	s_delay_alu instid0(VALU_DEP_1)
	v_dual_mov_b32 v5, v16 :: v_dual_mov_b32 v4, v15
	v_mov_b32_e32 v14, v16
.LBB14_35:                              ;   in Loop: Header=BB14_3 Depth=1
	s_or_b32 exec_lo, exec_lo, s5
	ds_bpermute_b32 v15, v10, v4
	s_wait_dscnt 0x1
	ds_bpermute_b32 v16, v10, v5
	s_mov_b32 s5, exec_lo
	s_wait_dscnt 0x1
	v_cmpx_ne_u32_e32 0, v15
	s_cbranch_execz .LBB14_39
; %bb.36:                               ;   in Loop: Header=BB14_3 Depth=1
	v_cmp_ne_u32_e64 s3, 0, v4
	s_wait_dscnt 0x0
	v_cmp_ngt_f32_e64 s4, v14, v16
	v_mov_b32_e32 v17, v16
	s_and_b32 s3, s3, s4
	s_delay_alu instid0(SALU_CYCLE_1)
	s_and_saveexec_b32 s4, s3
; %bb.37:                               ;   in Loop: Header=BB14_3 Depth=1
	v_dual_mov_b32 v17, v14 :: v_dual_min_i32 v15, v15, v4
	v_cmp_eq_f32_e64 s3, v14, v16
	s_delay_alu instid0(VALU_DEP_1)
	v_dual_mov_b32 v16, v5 :: v_dual_cndmask_b32 v15, v4, v15, s3
; %bb.38:                               ;   in Loop: Header=BB14_3 Depth=1
	s_or_b32 exec_lo, exec_lo, s4
	s_delay_alu instid0(VALU_DEP_1)
	v_dual_mov_b32 v5, v16 :: v_dual_mov_b32 v4, v15
	v_mov_b32_e32 v14, v17
.LBB14_39:                              ;   in Loop: Header=BB14_3 Depth=1
	s_or_b32 exec_lo, exec_lo, s5
	ds_bpermute_b32 v15, v11, v4
	s_wait_dscnt 0x1
	ds_bpermute_b32 v16, v11, v5
	s_mov_b32 s5, exec_lo
	s_wait_dscnt 0x1
	v_cmpx_ne_u32_e32 0, v15
	s_cbranch_execz .LBB14_43
; %bb.40:                               ;   in Loop: Header=BB14_3 Depth=1
	v_cmp_ne_u32_e64 s3, 0, v4
	s_wait_dscnt 0x0
	v_cmp_ngt_f32_e64 s4, v14, v16
	v_mov_b32_e32 v17, v16
	s_and_b32 s3, s3, s4
	s_delay_alu instid0(SALU_CYCLE_1)
	s_and_saveexec_b32 s4, s3
; %bb.41:                               ;   in Loop: Header=BB14_3 Depth=1
	v_dual_mov_b32 v17, v14 :: v_dual_min_i32 v15, v15, v4
	v_cmp_eq_f32_e64 s3, v14, v16
	s_delay_alu instid0(VALU_DEP_1)
	v_dual_mov_b32 v16, v5 :: v_dual_cndmask_b32 v15, v4, v15, s3
; %bb.42:                               ;   in Loop: Header=BB14_3 Depth=1
	s_or_b32 exec_lo, exec_lo, s4
	s_delay_alu instid0(VALU_DEP_1)
	v_dual_mov_b32 v5, v16 :: v_dual_mov_b32 v4, v15
	v_mov_b32_e32 v14, v17
.LBB14_43:                              ;   in Loop: Header=BB14_3 Depth=1
	s_or_b32 exec_lo, exec_lo, s5
	ds_bpermute_b32 v15, v12, v4
	s_wait_dscnt 0x1
	ds_bpermute_b32 v16, v12, v5
	s_mov_b32 s16, exec_lo
	s_wait_dscnt 0x1
	v_cmpx_ne_u32_e32 0, v15
	s_cbranch_execz .LBB14_45
; %bb.44:                               ;   in Loop: Header=BB14_3 Depth=1
	v_cmp_eq_u32_e64 s3, 0, v4
	s_wait_dscnt 0x0
	v_cmp_gt_f32_e64 s4, v14, v16
	v_cmp_eq_f32_e64 s5, v14, v16
	s_or_b32 s3, s3, s4
	v_min_i32_e32 v17, v15, v4
	s_delay_alu instid0(VALU_DEP_1) | instskip(NEXT) | instid1(VALU_DEP_1)
	v_dual_cndmask_b32 v5, v5, v16, s3 :: v_dual_cndmask_b32 v4, v4, v17, s5
	v_cndmask_b32_e64 v4, v4, v15, s3
.LBB14_45:                              ;   in Loop: Header=BB14_3 Depth=1
	s_or_b32 exec_lo, exec_lo, s16
	s_delay_alu instid0(SALU_CYCLE_1)
	s_or_b32 exec_lo, exec_lo, s15
	s_and_saveexec_b32 s3, s0
	s_cbranch_execz .LBB14_2
.LBB14_46:                              ;   in Loop: Header=BB14_3 Depth=1
	v_mov_b32_e32 v14, s6
	s_wait_dscnt 0x0
	global_store_b64 v14, v[4:5], s[12:13] scale_offset
	s_branch .LBB14_2
.LBB14_47:
	s_endpgm
	.section	.rodata,"a",@progbits
	.p2align	6, 0x0
	.amdhsa_kernel _ZL32rocblas_iamax_iamin_kernel_part1ILi1024E23rocblas_fetch_amax_aminIfE19rocblas_reduce_aminPK19rocblas_complex_numIfE21rocblas_index_value_tIfEEviiT2_liliPT3_
		.amdhsa_group_segment_fixed_size 256
		.amdhsa_private_segment_fixed_size 0
		.amdhsa_kernarg_size 56
		.amdhsa_user_sgpr_count 2
		.amdhsa_user_sgpr_dispatch_ptr 0
		.amdhsa_user_sgpr_queue_ptr 0
		.amdhsa_user_sgpr_kernarg_segment_ptr 1
		.amdhsa_user_sgpr_dispatch_id 0
		.amdhsa_user_sgpr_kernarg_preload_length 0
		.amdhsa_user_sgpr_kernarg_preload_offset 0
		.amdhsa_user_sgpr_private_segment_size 0
		.amdhsa_wavefront_size32 1
		.amdhsa_uses_dynamic_stack 0
		.amdhsa_enable_private_segment 0
		.amdhsa_system_sgpr_workgroup_id_x 1
		.amdhsa_system_sgpr_workgroup_id_y 0
		.amdhsa_system_sgpr_workgroup_id_z 1
		.amdhsa_system_sgpr_workgroup_info 0
		.amdhsa_system_vgpr_workitem_id 0
		.amdhsa_next_free_vgpr 18
		.amdhsa_next_free_sgpr 18
		.amdhsa_named_barrier_count 0
		.amdhsa_reserve_vcc 1
		.amdhsa_float_round_mode_32 0
		.amdhsa_float_round_mode_16_64 0
		.amdhsa_float_denorm_mode_32 3
		.amdhsa_float_denorm_mode_16_64 3
		.amdhsa_fp16_overflow 0
		.amdhsa_memory_ordered 1
		.amdhsa_forward_progress 1
		.amdhsa_inst_pref_size 15
		.amdhsa_round_robin_scheduling 0
		.amdhsa_exception_fp_ieee_invalid_op 0
		.amdhsa_exception_fp_denorm_src 0
		.amdhsa_exception_fp_ieee_div_zero 0
		.amdhsa_exception_fp_ieee_overflow 0
		.amdhsa_exception_fp_ieee_underflow 0
		.amdhsa_exception_fp_ieee_inexact 0
		.amdhsa_exception_int_div_zero 0
	.end_amdhsa_kernel
	.section	.text._ZL32rocblas_iamax_iamin_kernel_part1ILi1024E23rocblas_fetch_amax_aminIfE19rocblas_reduce_aminPK19rocblas_complex_numIfE21rocblas_index_value_tIfEEviiT2_liliPT3_,"axG",@progbits,_ZL32rocblas_iamax_iamin_kernel_part1ILi1024E23rocblas_fetch_amax_aminIfE19rocblas_reduce_aminPK19rocblas_complex_numIfE21rocblas_index_value_tIfEEviiT2_liliPT3_,comdat
.Lfunc_end14:
	.size	_ZL32rocblas_iamax_iamin_kernel_part1ILi1024E23rocblas_fetch_amax_aminIfE19rocblas_reduce_aminPK19rocblas_complex_numIfE21rocblas_index_value_tIfEEviiT2_liliPT3_, .Lfunc_end14-_ZL32rocblas_iamax_iamin_kernel_part1ILi1024E23rocblas_fetch_amax_aminIfE19rocblas_reduce_aminPK19rocblas_complex_numIfE21rocblas_index_value_tIfEEviiT2_liliPT3_
                                        ; -- End function
	.set _ZL32rocblas_iamax_iamin_kernel_part1ILi1024E23rocblas_fetch_amax_aminIfE19rocblas_reduce_aminPK19rocblas_complex_numIfE21rocblas_index_value_tIfEEviiT2_liliPT3_.num_vgpr, 18
	.set _ZL32rocblas_iamax_iamin_kernel_part1ILi1024E23rocblas_fetch_amax_aminIfE19rocblas_reduce_aminPK19rocblas_complex_numIfE21rocblas_index_value_tIfEEviiT2_liliPT3_.num_agpr, 0
	.set _ZL32rocblas_iamax_iamin_kernel_part1ILi1024E23rocblas_fetch_amax_aminIfE19rocblas_reduce_aminPK19rocblas_complex_numIfE21rocblas_index_value_tIfEEviiT2_liliPT3_.numbered_sgpr, 18
	.set _ZL32rocblas_iamax_iamin_kernel_part1ILi1024E23rocblas_fetch_amax_aminIfE19rocblas_reduce_aminPK19rocblas_complex_numIfE21rocblas_index_value_tIfEEviiT2_liliPT3_.num_named_barrier, 0
	.set _ZL32rocblas_iamax_iamin_kernel_part1ILi1024E23rocblas_fetch_amax_aminIfE19rocblas_reduce_aminPK19rocblas_complex_numIfE21rocblas_index_value_tIfEEviiT2_liliPT3_.private_seg_size, 0
	.set _ZL32rocblas_iamax_iamin_kernel_part1ILi1024E23rocblas_fetch_amax_aminIfE19rocblas_reduce_aminPK19rocblas_complex_numIfE21rocblas_index_value_tIfEEviiT2_liliPT3_.uses_vcc, 1
	.set _ZL32rocblas_iamax_iamin_kernel_part1ILi1024E23rocblas_fetch_amax_aminIfE19rocblas_reduce_aminPK19rocblas_complex_numIfE21rocblas_index_value_tIfEEviiT2_liliPT3_.uses_flat_scratch, 0
	.set _ZL32rocblas_iamax_iamin_kernel_part1ILi1024E23rocblas_fetch_amax_aminIfE19rocblas_reduce_aminPK19rocblas_complex_numIfE21rocblas_index_value_tIfEEviiT2_liliPT3_.has_dyn_sized_stack, 0
	.set _ZL32rocblas_iamax_iamin_kernel_part1ILi1024E23rocblas_fetch_amax_aminIfE19rocblas_reduce_aminPK19rocblas_complex_numIfE21rocblas_index_value_tIfEEviiT2_liliPT3_.has_recursion, 0
	.set _ZL32rocblas_iamax_iamin_kernel_part1ILi1024E23rocblas_fetch_amax_aminIfE19rocblas_reduce_aminPK19rocblas_complex_numIfE21rocblas_index_value_tIfEEviiT2_liliPT3_.has_indirect_call, 0
	.section	.AMDGPU.csdata,"",@progbits
; Kernel info:
; codeLenInByte = 1864
; TotalNumSgprs: 20
; NumVgprs: 18
; ScratchSize: 0
; MemoryBound: 0
; FloatMode: 240
; IeeeMode: 1
; LDSByteSize: 256 bytes/workgroup (compile time only)
; SGPRBlocks: 0
; VGPRBlocks: 1
; NumSGPRsForWavesPerEU: 20
; NumVGPRsForWavesPerEU: 18
; NamedBarCnt: 0
; Occupancy: 16
; WaveLimiterHint : 0
; COMPUTE_PGM_RSRC2:SCRATCH_EN: 0
; COMPUTE_PGM_RSRC2:USER_SGPR: 2
; COMPUTE_PGM_RSRC2:TRAP_HANDLER: 0
; COMPUTE_PGM_RSRC2:TGID_X_EN: 1
; COMPUTE_PGM_RSRC2:TGID_Y_EN: 0
; COMPUTE_PGM_RSRC2:TGID_Z_EN: 1
; COMPUTE_PGM_RSRC2:TIDIG_COMP_CNT: 0
	.section	.text._ZL32rocblas_iamax_iamin_kernel_part1ILi1024E23rocblas_fetch_amax_aminIdE19rocblas_reduce_aminPK19rocblas_complex_numIdE21rocblas_index_value_tIdEEviiT2_liliPT3_,"axG",@progbits,_ZL32rocblas_iamax_iamin_kernel_part1ILi1024E23rocblas_fetch_amax_aminIdE19rocblas_reduce_aminPK19rocblas_complex_numIdE21rocblas_index_value_tIdEEviiT2_liliPT3_,comdat
	.globl	_ZL32rocblas_iamax_iamin_kernel_part1ILi1024E23rocblas_fetch_amax_aminIdE19rocblas_reduce_aminPK19rocblas_complex_numIdE21rocblas_index_value_tIdEEviiT2_liliPT3_ ; -- Begin function _ZL32rocblas_iamax_iamin_kernel_part1ILi1024E23rocblas_fetch_amax_aminIdE19rocblas_reduce_aminPK19rocblas_complex_numIdE21rocblas_index_value_tIdEEviiT2_liliPT3_
	.p2align	8
	.type	_ZL32rocblas_iamax_iamin_kernel_part1ILi1024E23rocblas_fetch_amax_aminIdE19rocblas_reduce_aminPK19rocblas_complex_numIdE21rocblas_index_value_tIdEEviiT2_liliPT3_,@function
_ZL32rocblas_iamax_iamin_kernel_part1ILi1024E23rocblas_fetch_amax_aminIdE19rocblas_reduce_aminPK19rocblas_complex_numIdE21rocblas_index_value_tIdEEviiT2_liliPT3_: ; @_ZL32rocblas_iamax_iamin_kernel_part1ILi1024E23rocblas_fetch_amax_aminIdE19rocblas_reduce_aminPK19rocblas_complex_numIdE21rocblas_index_value_tIdEEviiT2_liliPT3_
; %bb.0:
	s_load_b32 s14, s[0:1], 0x28
	s_bfe_u32 s2, ttmp6, 0x40014
	s_lshr_b32 s3, ttmp7, 16
	s_add_co_i32 s2, s2, 1
	s_bfe_u32 s5, ttmp6, 0x40008
	s_mul_i32 s4, s3, s2
	s_getreg_b32 s2, hwreg(HW_REG_IB_STS2, 6, 4)
	s_add_co_i32 s5, s5, s4
	s_cmp_eq_u32 s2, 0
	s_mov_b32 s9, 0
	s_cselect_b32 s8, s3, s5
	s_wait_kmcnt 0x0
	s_cmp_ge_u32 s8, s14
	s_cbranch_scc1 .LBB15_51
; %bb.1:
	s_clause 0x1
	s_load_b32 s16, s[0:1], 0x18
	s_load_b128 s[4:7], s[0:1], 0x8
	s_bfe_u32 s3, ttmp6, 0x4000c
	s_and_b32 s15, ttmp6, 15
	s_add_co_i32 s3, s3, 1
	v_dual_mov_b32 v3, 0 :: v_dual_bitop2_b32 v6, 31, v0 bitop3:0x40
	s_mul_i32 s3, ttmp9, s3
	v_mbcnt_lo_u32_b32 v7, -1, 0
	s_add_co_i32 s15, s15, s3
	s_clause 0x1
	s_load_b64 s[10:11], s[0:1], 0x20
	s_load_b64 s[12:13], s[0:1], 0x30
	v_dual_lshrrev_b32 v8, 1, v0 :: v_dual_lshlrev_b32 v14, 4, v6
	v_cmp_gt_u32_e32 vcc_lo, 32, v0
	v_lshl_or_b32 v15, v7, 2, 64
	s_delay_alu instid0(VALU_DEP_3)
	v_and_b32_e32 v16, 0x1f0, v8
	s_wait_kmcnt 0x0
	s_ashr_i32 s17, s16, 31
	s_lshl_b64 s[6:7], s[6:7], 4
	s_cmp_eq_u32 s2, 0
	s_load_b64 s[2:3], s[0:1], 0x0
	s_cselect_b32 s15, ttmp9, s15
	s_wait_xcnt 0x0
	v_cmp_gt_u32_e64 s1, 24, v7
	v_lshl_or_b32 v2, s15, 10, v0
	v_cmp_eq_u32_e64 s0, 0, v0
	v_mov_b64_e32 v[0:1], 0
	s_add_nc_u64 s[4:5], s[4:5], s[6:7]
	v_cndmask_b32_e64 v9, 0, 8, s1
	v_mul_u64_e32 v[4:5], s[16:17], v[2:3]
	v_cmp_gt_u32_e64 s1, 28, v7
	s_delay_alu instid0(VALU_DEP_3) | instskip(NEXT) | instid1(VALU_DEP_2)
	v_add_lshl_u32 v17, v9, v7, 2
	v_cndmask_b32_e64 v10, 0, 4, s1
	v_cmp_gt_u32_e64 s1, 30, v7
	s_delay_alu instid0(VALU_DEP_2) | instskip(NEXT) | instid1(VALU_DEP_2)
	v_add_lshl_u32 v18, v10, v7, 2
	v_cndmask_b32_e64 v11, 0, 2, s1
	v_cmp_ne_u32_e64 s1, 31, v7
	s_wait_kmcnt 0x0
	s_mov_b32 s16, s2
	s_ashr_i32 s17, s2, 31
	s_delay_alu instid0(SALU_CYCLE_1) | instskip(SKIP_3) | instid1(VALU_DEP_3)
	v_cmp_gt_i64_e64 s2, s[16:17], v[2:3]
	v_add_co_ci_u32_e64 v12, null, 0, v7, s1
	v_cmp_eq_u32_e64 s1, 0, v6
	v_add_lshl_u32 v19, v11, v7, 2
	v_dual_add_nc_u32 v2, 1, v2 :: v_dual_lshlrev_b32 v20, 2, v12
	v_lshl_add_u64 v[4:5], v[4:5], 4, s[4:5]
	s_mul_i32 s4, s8, s3
	s_delay_alu instid0(SALU_CYCLE_1)
	s_add_co_i32 s6, s15, s4
	s_lshl_b32 s15, s3, 16
	s_branch .LBB15_3
.LBB15_2:                               ;   in Loop: Header=BB15_3 Depth=1
	s_wait_xcnt 0x0
	s_or_b32 exec_lo, exec_lo, s3
	s_add_co_i32 s8, s8, 0x10000
	s_add_co_i32 s6, s6, s15
	s_cmp_lt_u32 s8, s14
	s_cbranch_scc0 .LBB15_51
.LBB15_3:                               ; =>This Inner Loop Header: Depth=1
	s_wait_dscnt 0x1
	v_mov_b32_e32 v21, 0
                                        ; implicit-def: $vgpr6_vgpr7
	s_and_saveexec_b32 s4, s2
	s_cbranch_execz .LBB15_5
; %bb.4:                                ;   in Loop: Header=BB15_3 Depth=1
	s_mul_u64 s[16:17], s[10:11], s[8:9]
	v_mov_b32_e32 v21, v2
	s_wait_dscnt 0x0
	v_lshl_add_u64 v[6:7], s[16:17], 4, v[4:5]
	global_load_b128 v[6:9], v[6:7], off
	s_wait_loadcnt 0x0
	v_cmp_gt_f64_e64 s3, 0, v[6:7]
	v_xor_b32_e32 v10, 0x80000000, v7
	v_xor_b32_e32 v11, 0x80000000, v9
	s_wait_xcnt 0x0
	s_delay_alu instid0(VALU_DEP_2) | instskip(SKIP_1) | instid1(VALU_DEP_1)
	v_cndmask_b32_e64 v7, v7, v10, s3
	v_cmp_gt_f64_e64 s3, 0, v[8:9]
	v_cndmask_b32_e64 v9, v9, v11, s3
	s_delay_alu instid0(VALU_DEP_1)
	v_add_f64_e32 v[6:7], v[6:7], v[8:9]
.LBB15_5:                               ;   in Loop: Header=BB15_3 Depth=1
	s_or_b32 exec_lo, exec_lo, s4
	s_and_saveexec_b32 s3, vcc_lo
	s_cbranch_execz .LBB15_7
; %bb.6:                                ;   in Loop: Header=BB15_3 Depth=1
	ds_store_b32 v14, v3
	ds_store_b64 v14, v[0:1] offset:8
.LBB15_7:                               ;   in Loop: Header=BB15_3 Depth=1
	s_or_b32 exec_lo, exec_lo, s3
	ds_bpermute_b32 v12, v15, v21
	s_wait_dscnt 0x1
	ds_bpermute_b32 v10, v15, v6
	ds_bpermute_b32 v11, v15, v7
	v_mov_b64_e32 v[8:9], v[6:7]
	s_mov_b32 s5, exec_lo
	s_wait_dscnt 0x0
	s_barrier_signal -1
	s_barrier_wait -1
	v_cmpx_ne_u32_e32 0, v12
	s_cbranch_execz .LBB15_11
; %bb.8:                                ;   in Loop: Header=BB15_3 Depth=1
	v_cmp_ngt_f64_e64 s3, v[6:7], v[10:11]
	v_cmp_ne_u32_e64 s4, 0, v21
	v_mov_b64_e32 v[8:9], v[10:11]
	s_and_b32 s3, s4, s3
	s_delay_alu instid0(SALU_CYCLE_1)
	s_and_saveexec_b32 s4, s3
	s_cbranch_execz .LBB15_10
; %bb.9:                                ;   in Loop: Header=BB15_3 Depth=1
	v_cmp_eq_f64_e64 s3, v[6:7], v[10:11]
	v_dual_mov_b32 v10, v6 :: v_dual_min_i32 v12, v12, v21
	v_mov_b64_e32 v[8:9], v[6:7]
	s_delay_alu instid0(VALU_DEP_2)
	v_dual_mov_b32 v11, v7 :: v_dual_cndmask_b32 v12, v21, v12, s3
.LBB15_10:                              ;   in Loop: Header=BB15_3 Depth=1
	s_or_b32 exec_lo, exec_lo, s4
	s_delay_alu instid0(VALU_DEP_1) | instskip(NEXT) | instid1(VALU_DEP_2)
	v_dual_mov_b32 v7, v11 :: v_dual_mov_b32 v6, v10
	v_mov_b32_e32 v21, v12
.LBB15_11:                              ;   in Loop: Header=BB15_3 Depth=1
	s_or_b32 exec_lo, exec_lo, s5
	ds_bpermute_b32 v22, v17, v21
	ds_bpermute_b32 v10, v17, v6
	;; [unrolled: 1-line block ×3, first 2 shown]
	s_mov_b32 s5, exec_lo
	s_wait_dscnt 0x2
	v_cmpx_ne_u32_e32 0, v22
	s_cbranch_execz .LBB15_15
; %bb.12:                               ;   in Loop: Header=BB15_3 Depth=1
	s_wait_dscnt 0x0
	v_cmp_ngt_f64_e64 s3, v[8:9], v[10:11]
	v_cmp_ne_u32_e64 s4, 0, v21
	v_mov_b64_e32 v[12:13], v[10:11]
	s_and_b32 s3, s4, s3
	s_delay_alu instid0(SALU_CYCLE_1)
	s_and_saveexec_b32 s4, s3
	s_cbranch_execz .LBB15_14
; %bb.13:                               ;   in Loop: Header=BB15_3 Depth=1
	v_cmp_eq_f64_e64 s3, v[8:9], v[10:11]
	v_dual_mov_b32 v11, v7 :: v_dual_min_i32 v22, v22, v21
	v_mov_b64_e32 v[12:13], v[8:9]
	s_delay_alu instid0(VALU_DEP_2)
	v_dual_mov_b32 v10, v6 :: v_dual_cndmask_b32 v22, v21, v22, s3
.LBB15_14:                              ;   in Loop: Header=BB15_3 Depth=1
	s_or_b32 exec_lo, exec_lo, s4
	s_delay_alu instid0(VALU_DEP_1) | instskip(NEXT) | instid1(VALU_DEP_2)
	v_mov_b64_e32 v[8:9], v[12:13]
	v_dual_mov_b32 v7, v11 :: v_dual_mov_b32 v6, v10
	s_delay_alu instid0(VALU_DEP_3)
	v_mov_b32_e32 v21, v22
.LBB15_15:                              ;   in Loop: Header=BB15_3 Depth=1
	s_or_b32 exec_lo, exec_lo, s5
	ds_bpermute_b32 v22, v18, v21
	s_wait_dscnt 0x2
	ds_bpermute_b32 v10, v18, v6
	s_wait_dscnt 0x2
	ds_bpermute_b32 v11, v18, v7
	s_mov_b32 s5, exec_lo
	s_wait_dscnt 0x2
	v_cmpx_ne_u32_e32 0, v22
	s_cbranch_execz .LBB15_19
; %bb.16:                               ;   in Loop: Header=BB15_3 Depth=1
	s_wait_dscnt 0x0
	v_cmp_ngt_f64_e64 s3, v[8:9], v[10:11]
	v_cmp_ne_u32_e64 s4, 0, v21
	v_mov_b64_e32 v[12:13], v[10:11]
	s_and_b32 s3, s4, s3
	s_delay_alu instid0(SALU_CYCLE_1)
	s_and_saveexec_b32 s4, s3
	s_cbranch_execz .LBB15_18
; %bb.17:                               ;   in Loop: Header=BB15_3 Depth=1
	v_cmp_eq_f64_e64 s3, v[8:9], v[10:11]
	v_dual_mov_b32 v11, v7 :: v_dual_min_i32 v22, v22, v21
	v_mov_b64_e32 v[12:13], v[8:9]
	s_delay_alu instid0(VALU_DEP_2)
	v_dual_mov_b32 v10, v6 :: v_dual_cndmask_b32 v22, v21, v22, s3
.LBB15_18:                              ;   in Loop: Header=BB15_3 Depth=1
	s_or_b32 exec_lo, exec_lo, s4
	s_delay_alu instid0(VALU_DEP_1) | instskip(NEXT) | instid1(VALU_DEP_2)
	v_mov_b64_e32 v[8:9], v[12:13]
	v_dual_mov_b32 v7, v11 :: v_dual_mov_b32 v6, v10
	s_delay_alu instid0(VALU_DEP_3)
	v_mov_b32_e32 v21, v22
.LBB15_19:                              ;   in Loop: Header=BB15_3 Depth=1
	s_or_b32 exec_lo, exec_lo, s5
	ds_bpermute_b32 v22, v19, v21
	s_wait_dscnt 0x2
	ds_bpermute_b32 v10, v19, v6
	s_wait_dscnt 0x2
	ds_bpermute_b32 v11, v19, v7
	s_mov_b32 s5, exec_lo
	s_wait_dscnt 0x2
	v_cmpx_ne_u32_e32 0, v22
	s_cbranch_execz .LBB15_23
; %bb.20:                               ;   in Loop: Header=BB15_3 Depth=1
	s_wait_dscnt 0x0
	v_cmp_ngt_f64_e64 s3, v[8:9], v[10:11]
	v_cmp_ne_u32_e64 s4, 0, v21
	v_mov_b64_e32 v[12:13], v[10:11]
	s_and_b32 s3, s4, s3
	s_delay_alu instid0(SALU_CYCLE_1)
	s_and_saveexec_b32 s4, s3
	s_cbranch_execz .LBB15_22
; %bb.21:                               ;   in Loop: Header=BB15_3 Depth=1
	v_cmp_eq_f64_e64 s3, v[8:9], v[10:11]
	v_dual_mov_b32 v11, v7 :: v_dual_min_i32 v22, v22, v21
	v_mov_b64_e32 v[12:13], v[8:9]
	s_delay_alu instid0(VALU_DEP_2)
	v_dual_mov_b32 v10, v6 :: v_dual_cndmask_b32 v22, v21, v22, s3
.LBB15_22:                              ;   in Loop: Header=BB15_3 Depth=1
	s_or_b32 exec_lo, exec_lo, s4
	s_delay_alu instid0(VALU_DEP_1) | instskip(NEXT) | instid1(VALU_DEP_2)
	v_mov_b64_e32 v[8:9], v[12:13]
	v_dual_mov_b32 v7, v11 :: v_dual_mov_b32 v6, v10
	s_delay_alu instid0(VALU_DEP_3)
	v_mov_b32_e32 v21, v22
.LBB15_23:                              ;   in Loop: Header=BB15_3 Depth=1
	s_or_b32 exec_lo, exec_lo, s5
	s_wait_dscnt 0x1
	ds_bpermute_b32 v10, v20, v21
	ds_bpermute_b32 v6, v20, v6
	;; [unrolled: 1-line block ×3, first 2 shown]
	s_mov_b32 s7, exec_lo
	s_wait_dscnt 0x2
	v_cmpx_ne_u32_e32 0, v10
	s_cbranch_execz .LBB15_25
; %bb.24:                               ;   in Loop: Header=BB15_3 Depth=1
	s_wait_dscnt 0x0
	v_cmp_gt_f64_e64 s3, v[8:9], v[6:7]
	v_cmp_eq_f64_e64 s5, v[8:9], v[6:7]
	v_cmp_eq_u32_e64 s4, 0, v21
	s_or_b32 s3, s4, s3
	s_delay_alu instid0(SALU_CYCLE_1) | instskip(NEXT) | instid1(VALU_DEP_1)
	v_dual_cndmask_b32 v9, v9, v7, s3 :: v_dual_min_i32 v11, v10, v21
	v_dual_cndmask_b32 v8, v8, v6, s3 :: v_dual_cndmask_b32 v11, v21, v11, s5
	s_delay_alu instid0(VALU_DEP_1)
	v_cndmask_b32_e64 v21, v11, v10, s3
.LBB15_25:                              ;   in Loop: Header=BB15_3 Depth=1
	s_or_b32 exec_lo, exec_lo, s7
	s_and_saveexec_b32 s3, s1
	s_cbranch_execz .LBB15_27
; %bb.26:                               ;   in Loop: Header=BB15_3 Depth=1
	ds_store_b32 v16, v21
	ds_store_b64 v16, v[8:9] offset:8
.LBB15_27:                              ;   in Loop: Header=BB15_3 Depth=1
	s_or_b32 exec_lo, exec_lo, s3
	s_wait_dscnt 0x0
	v_mov_b64_e32 v[6:7], 0
	v_mov_b32_e32 v21, 0
	s_barrier_signal -1
	s_barrier_wait -1
	s_and_saveexec_b32 s3, vcc_lo
	s_cbranch_execnz .LBB15_30
; %bb.28:                               ;   in Loop: Header=BB15_3 Depth=1
	s_or_b32 exec_lo, exec_lo, s3
	s_and_saveexec_b32 s7, vcc_lo
	s_cbranch_execnz .LBB15_31
.LBB15_29:                              ;   in Loop: Header=BB15_3 Depth=1
	s_or_b32 exec_lo, exec_lo, s7
	s_and_saveexec_b32 s3, s0
	s_cbranch_execz .LBB15_2
	s_branch .LBB15_50
.LBB15_30:                              ;   in Loop: Header=BB15_3 Depth=1
	ds_load_b32 v21, v14
	ds_load_b64 v[6:7], v14 offset:8
	s_or_b32 exec_lo, exec_lo, s3
	s_and_saveexec_b32 s7, vcc_lo
	s_cbranch_execz .LBB15_29
.LBB15_31:                              ;   in Loop: Header=BB15_3 Depth=1
	s_wait_dscnt 0x1
	ds_bpermute_b32 v12, v15, v21
	s_wait_dscnt 0x1
	ds_bpermute_b32 v10, v15, v6
	ds_bpermute_b32 v11, v15, v7
	v_mov_b64_e32 v[8:9], v[6:7]
	s_mov_b32 s5, exec_lo
	s_wait_dscnt 0x2
	v_cmpx_ne_u32_e32 0, v12
	s_cbranch_execz .LBB15_35
; %bb.32:                               ;   in Loop: Header=BB15_3 Depth=1
	s_wait_dscnt 0x0
	v_cmp_ngt_f64_e64 s3, v[6:7], v[10:11]
	v_cmp_ne_u32_e64 s4, 0, v21
	v_mov_b64_e32 v[8:9], v[10:11]
	s_and_b32 s3, s4, s3
	s_delay_alu instid0(SALU_CYCLE_1)
	s_and_saveexec_b32 s4, s3
	s_cbranch_execz .LBB15_34
; %bb.33:                               ;   in Loop: Header=BB15_3 Depth=1
	v_cmp_eq_f64_e64 s3, v[6:7], v[10:11]
	v_dual_mov_b32 v10, v6 :: v_dual_min_i32 v12, v12, v21
	v_mov_b64_e32 v[8:9], v[6:7]
	s_delay_alu instid0(VALU_DEP_2)
	v_dual_mov_b32 v11, v7 :: v_dual_cndmask_b32 v12, v21, v12, s3
.LBB15_34:                              ;   in Loop: Header=BB15_3 Depth=1
	s_or_b32 exec_lo, exec_lo, s4
	s_delay_alu instid0(VALU_DEP_1) | instskip(NEXT) | instid1(VALU_DEP_2)
	v_dual_mov_b32 v7, v11 :: v_dual_mov_b32 v6, v10
	v_mov_b32_e32 v21, v12
.LBB15_35:                              ;   in Loop: Header=BB15_3 Depth=1
	s_or_b32 exec_lo, exec_lo, s5
	ds_bpermute_b32 v22, v17, v21
	s_wait_dscnt 0x2
	ds_bpermute_b32 v10, v17, v6
	s_wait_dscnt 0x2
	ds_bpermute_b32 v11, v17, v7
	s_mov_b32 s5, exec_lo
	s_wait_dscnt 0x2
	v_cmpx_ne_u32_e32 0, v22
	s_cbranch_execz .LBB15_39
; %bb.36:                               ;   in Loop: Header=BB15_3 Depth=1
	s_wait_dscnt 0x0
	v_cmp_ngt_f64_e64 s3, v[8:9], v[10:11]
	v_cmp_ne_u32_e64 s4, 0, v21
	v_mov_b64_e32 v[12:13], v[10:11]
	s_and_b32 s3, s4, s3
	s_delay_alu instid0(SALU_CYCLE_1)
	s_and_saveexec_b32 s4, s3
	s_cbranch_execz .LBB15_38
; %bb.37:                               ;   in Loop: Header=BB15_3 Depth=1
	v_cmp_eq_f64_e64 s3, v[8:9], v[10:11]
	v_dual_mov_b32 v11, v7 :: v_dual_min_i32 v22, v22, v21
	v_mov_b64_e32 v[12:13], v[8:9]
	s_delay_alu instid0(VALU_DEP_2)
	v_dual_mov_b32 v10, v6 :: v_dual_cndmask_b32 v22, v21, v22, s3
.LBB15_38:                              ;   in Loop: Header=BB15_3 Depth=1
	s_or_b32 exec_lo, exec_lo, s4
	s_delay_alu instid0(VALU_DEP_1) | instskip(NEXT) | instid1(VALU_DEP_2)
	v_mov_b64_e32 v[8:9], v[12:13]
	v_dual_mov_b32 v7, v11 :: v_dual_mov_b32 v6, v10
	s_delay_alu instid0(VALU_DEP_3)
	v_mov_b32_e32 v21, v22
.LBB15_39:                              ;   in Loop: Header=BB15_3 Depth=1
	s_or_b32 exec_lo, exec_lo, s5
	ds_bpermute_b32 v22, v18, v21
	s_wait_dscnt 0x2
	ds_bpermute_b32 v10, v18, v6
	s_wait_dscnt 0x2
	ds_bpermute_b32 v11, v18, v7
	s_mov_b32 s5, exec_lo
	s_wait_dscnt 0x2
	v_cmpx_ne_u32_e32 0, v22
	s_cbranch_execz .LBB15_43
; %bb.40:                               ;   in Loop: Header=BB15_3 Depth=1
	s_wait_dscnt 0x0
	v_cmp_ngt_f64_e64 s3, v[8:9], v[10:11]
	v_cmp_ne_u32_e64 s4, 0, v21
	v_mov_b64_e32 v[12:13], v[10:11]
	s_and_b32 s3, s4, s3
	s_delay_alu instid0(SALU_CYCLE_1)
	s_and_saveexec_b32 s4, s3
	s_cbranch_execz .LBB15_42
; %bb.41:                               ;   in Loop: Header=BB15_3 Depth=1
	v_cmp_eq_f64_e64 s3, v[8:9], v[10:11]
	v_dual_mov_b32 v11, v7 :: v_dual_min_i32 v22, v22, v21
	v_mov_b64_e32 v[12:13], v[8:9]
	s_delay_alu instid0(VALU_DEP_2)
	v_dual_mov_b32 v10, v6 :: v_dual_cndmask_b32 v22, v21, v22, s3
.LBB15_42:                              ;   in Loop: Header=BB15_3 Depth=1
	s_or_b32 exec_lo, exec_lo, s4
	s_delay_alu instid0(VALU_DEP_1) | instskip(NEXT) | instid1(VALU_DEP_2)
	v_mov_b64_e32 v[8:9], v[12:13]
	v_dual_mov_b32 v7, v11 :: v_dual_mov_b32 v6, v10
	s_delay_alu instid0(VALU_DEP_3)
	v_mov_b32_e32 v21, v22
.LBB15_43:                              ;   in Loop: Header=BB15_3 Depth=1
	;; [unrolled: 33-line block ×3, first 2 shown]
	s_or_b32 exec_lo, exec_lo, s5
	s_wait_dscnt 0x1
	ds_bpermute_b32 v10, v20, v21
	ds_bpermute_b32 v6, v20, v6
	;; [unrolled: 1-line block ×3, first 2 shown]
	s_mov_b32 s16, exec_lo
	s_wait_dscnt 0x2
	v_cmpx_ne_u32_e32 0, v10
	s_cbranch_execz .LBB15_49
; %bb.48:                               ;   in Loop: Header=BB15_3 Depth=1
	s_wait_dscnt 0x0
	v_cmp_gt_f64_e64 s3, v[8:9], v[6:7]
	v_cmp_eq_f64_e64 s5, v[8:9], v[6:7]
	v_cmp_eq_u32_e64 s4, 0, v21
	s_or_b32 s3, s4, s3
	s_delay_alu instid0(SALU_CYCLE_1) | instskip(NEXT) | instid1(VALU_DEP_1)
	v_dual_cndmask_b32 v9, v9, v7, s3 :: v_dual_min_i32 v11, v10, v21
	v_dual_cndmask_b32 v8, v8, v6, s3 :: v_dual_cndmask_b32 v11, v21, v11, s5
	s_delay_alu instid0(VALU_DEP_1)
	v_cndmask_b32_e64 v21, v11, v10, s3
.LBB15_49:                              ;   in Loop: Header=BB15_3 Depth=1
	s_or_b32 exec_lo, exec_lo, s16
	s_wait_dscnt 0x0
	s_delay_alu instid0(VALU_DEP_2)
	v_mov_b64_e32 v[6:7], v[8:9]
	s_or_b32 exec_lo, exec_lo, s7
	s_and_saveexec_b32 s3, s0
	s_cbranch_execz .LBB15_2
.LBB15_50:                              ;   in Loop: Header=BB15_3 Depth=1
	s_mov_b32 s7, s9
	s_delay_alu instid0(SALU_CYCLE_1) | instskip(NEXT) | instid1(SALU_CYCLE_1)
	s_lshl_b64 s[4:5], s[6:7], 4
	s_add_nc_u64 s[4:5], s[12:13], s[4:5]
	s_wait_dscnt 0x1
	global_store_b32 v3, v21, s[4:5]
	s_wait_dscnt 0x0
	global_store_b64 v3, v[6:7], s[4:5] offset:8
	s_branch .LBB15_2
.LBB15_51:
	s_endpgm
	.section	.rodata,"a",@progbits
	.p2align	6, 0x0
	.amdhsa_kernel _ZL32rocblas_iamax_iamin_kernel_part1ILi1024E23rocblas_fetch_amax_aminIdE19rocblas_reduce_aminPK19rocblas_complex_numIdE21rocblas_index_value_tIdEEviiT2_liliPT3_
		.amdhsa_group_segment_fixed_size 512
		.amdhsa_private_segment_fixed_size 0
		.amdhsa_kernarg_size 56
		.amdhsa_user_sgpr_count 2
		.amdhsa_user_sgpr_dispatch_ptr 0
		.amdhsa_user_sgpr_queue_ptr 0
		.amdhsa_user_sgpr_kernarg_segment_ptr 1
		.amdhsa_user_sgpr_dispatch_id 0
		.amdhsa_user_sgpr_kernarg_preload_length 0
		.amdhsa_user_sgpr_kernarg_preload_offset 0
		.amdhsa_user_sgpr_private_segment_size 0
		.amdhsa_wavefront_size32 1
		.amdhsa_uses_dynamic_stack 0
		.amdhsa_enable_private_segment 0
		.amdhsa_system_sgpr_workgroup_id_x 1
		.amdhsa_system_sgpr_workgroup_id_y 0
		.amdhsa_system_sgpr_workgroup_id_z 1
		.amdhsa_system_sgpr_workgroup_info 0
		.amdhsa_system_vgpr_workitem_id 0
		.amdhsa_next_free_vgpr 23
		.amdhsa_next_free_sgpr 18
		.amdhsa_named_barrier_count 0
		.amdhsa_reserve_vcc 1
		.amdhsa_float_round_mode_32 0
		.amdhsa_float_round_mode_16_64 0
		.amdhsa_float_denorm_mode_32 3
		.amdhsa_float_denorm_mode_16_64 3
		.amdhsa_fp16_overflow 0
		.amdhsa_memory_ordered 1
		.amdhsa_forward_progress 1
		.amdhsa_inst_pref_size 18
		.amdhsa_round_robin_scheduling 0
		.amdhsa_exception_fp_ieee_invalid_op 0
		.amdhsa_exception_fp_denorm_src 0
		.amdhsa_exception_fp_ieee_div_zero 0
		.amdhsa_exception_fp_ieee_overflow 0
		.amdhsa_exception_fp_ieee_underflow 0
		.amdhsa_exception_fp_ieee_inexact 0
		.amdhsa_exception_int_div_zero 0
	.end_amdhsa_kernel
	.section	.text._ZL32rocblas_iamax_iamin_kernel_part1ILi1024E23rocblas_fetch_amax_aminIdE19rocblas_reduce_aminPK19rocblas_complex_numIdE21rocblas_index_value_tIdEEviiT2_liliPT3_,"axG",@progbits,_ZL32rocblas_iamax_iamin_kernel_part1ILi1024E23rocblas_fetch_amax_aminIdE19rocblas_reduce_aminPK19rocblas_complex_numIdE21rocblas_index_value_tIdEEviiT2_liliPT3_,comdat
.Lfunc_end15:
	.size	_ZL32rocblas_iamax_iamin_kernel_part1ILi1024E23rocblas_fetch_amax_aminIdE19rocblas_reduce_aminPK19rocblas_complex_numIdE21rocblas_index_value_tIdEEviiT2_liliPT3_, .Lfunc_end15-_ZL32rocblas_iamax_iamin_kernel_part1ILi1024E23rocblas_fetch_amax_aminIdE19rocblas_reduce_aminPK19rocblas_complex_numIdE21rocblas_index_value_tIdEEviiT2_liliPT3_
                                        ; -- End function
	.set _ZL32rocblas_iamax_iamin_kernel_part1ILi1024E23rocblas_fetch_amax_aminIdE19rocblas_reduce_aminPK19rocblas_complex_numIdE21rocblas_index_value_tIdEEviiT2_liliPT3_.num_vgpr, 23
	.set _ZL32rocblas_iamax_iamin_kernel_part1ILi1024E23rocblas_fetch_amax_aminIdE19rocblas_reduce_aminPK19rocblas_complex_numIdE21rocblas_index_value_tIdEEviiT2_liliPT3_.num_agpr, 0
	.set _ZL32rocblas_iamax_iamin_kernel_part1ILi1024E23rocblas_fetch_amax_aminIdE19rocblas_reduce_aminPK19rocblas_complex_numIdE21rocblas_index_value_tIdEEviiT2_liliPT3_.numbered_sgpr, 18
	.set _ZL32rocblas_iamax_iamin_kernel_part1ILi1024E23rocblas_fetch_amax_aminIdE19rocblas_reduce_aminPK19rocblas_complex_numIdE21rocblas_index_value_tIdEEviiT2_liliPT3_.num_named_barrier, 0
	.set _ZL32rocblas_iamax_iamin_kernel_part1ILi1024E23rocblas_fetch_amax_aminIdE19rocblas_reduce_aminPK19rocblas_complex_numIdE21rocblas_index_value_tIdEEviiT2_liliPT3_.private_seg_size, 0
	.set _ZL32rocblas_iamax_iamin_kernel_part1ILi1024E23rocblas_fetch_amax_aminIdE19rocblas_reduce_aminPK19rocblas_complex_numIdE21rocblas_index_value_tIdEEviiT2_liliPT3_.uses_vcc, 1
	.set _ZL32rocblas_iamax_iamin_kernel_part1ILi1024E23rocblas_fetch_amax_aminIdE19rocblas_reduce_aminPK19rocblas_complex_numIdE21rocblas_index_value_tIdEEviiT2_liliPT3_.uses_flat_scratch, 0
	.set _ZL32rocblas_iamax_iamin_kernel_part1ILi1024E23rocblas_fetch_amax_aminIdE19rocblas_reduce_aminPK19rocblas_complex_numIdE21rocblas_index_value_tIdEEviiT2_liliPT3_.has_dyn_sized_stack, 0
	.set _ZL32rocblas_iamax_iamin_kernel_part1ILi1024E23rocblas_fetch_amax_aminIdE19rocblas_reduce_aminPK19rocblas_complex_numIdE21rocblas_index_value_tIdEEviiT2_liliPT3_.has_recursion, 0
	.set _ZL32rocblas_iamax_iamin_kernel_part1ILi1024E23rocblas_fetch_amax_aminIdE19rocblas_reduce_aminPK19rocblas_complex_numIdE21rocblas_index_value_tIdEEviiT2_liliPT3_.has_indirect_call, 0
	.section	.AMDGPU.csdata,"",@progbits
; Kernel info:
; codeLenInByte = 2264
; TotalNumSgprs: 20
; NumVgprs: 23
; ScratchSize: 0
; MemoryBound: 0
; FloatMode: 240
; IeeeMode: 1
; LDSByteSize: 512 bytes/workgroup (compile time only)
; SGPRBlocks: 0
; VGPRBlocks: 1
; NumSGPRsForWavesPerEU: 20
; NumVGPRsForWavesPerEU: 23
; NamedBarCnt: 0
; Occupancy: 16
; WaveLimiterHint : 0
; COMPUTE_PGM_RSRC2:SCRATCH_EN: 0
; COMPUTE_PGM_RSRC2:USER_SGPR: 2
; COMPUTE_PGM_RSRC2:TRAP_HANDLER: 0
; COMPUTE_PGM_RSRC2:TGID_X_EN: 1
; COMPUTE_PGM_RSRC2:TGID_Y_EN: 0
; COMPUTE_PGM_RSRC2:TGID_Z_EN: 1
; COMPUTE_PGM_RSRC2:TIDIG_COMP_CNT: 0
	.section	.text._ZL32rocblas_iamax_iamin_kernel_part1ILi1024E23rocblas_fetch_amax_aminIfE19rocblas_reduce_aminPKPKf21rocblas_index_value_tIfEEviiT2_liliPT3_,"axG",@progbits,_ZL32rocblas_iamax_iamin_kernel_part1ILi1024E23rocblas_fetch_amax_aminIfE19rocblas_reduce_aminPKPKf21rocblas_index_value_tIfEEviiT2_liliPT3_,comdat
	.globl	_ZL32rocblas_iamax_iamin_kernel_part1ILi1024E23rocblas_fetch_amax_aminIfE19rocblas_reduce_aminPKPKf21rocblas_index_value_tIfEEviiT2_liliPT3_ ; -- Begin function _ZL32rocblas_iamax_iamin_kernel_part1ILi1024E23rocblas_fetch_amax_aminIfE19rocblas_reduce_aminPKPKf21rocblas_index_value_tIfEEviiT2_liliPT3_
	.p2align	8
	.type	_ZL32rocblas_iamax_iamin_kernel_part1ILi1024E23rocblas_fetch_amax_aminIfE19rocblas_reduce_aminPKPKf21rocblas_index_value_tIfEEviiT2_liliPT3_,@function
_ZL32rocblas_iamax_iamin_kernel_part1ILi1024E23rocblas_fetch_amax_aminIfE19rocblas_reduce_aminPKPKf21rocblas_index_value_tIfEEviiT2_liliPT3_: ; @_ZL32rocblas_iamax_iamin_kernel_part1ILi1024E23rocblas_fetch_amax_aminIfE19rocblas_reduce_aminPKPKf21rocblas_index_value_tIfEEviiT2_liliPT3_
; %bb.0:
	s_load_b32 s12, s[0:1], 0x28
	s_bfe_u32 s2, ttmp6, 0x40014
	s_lshr_b32 s3, ttmp7, 16
	s_add_co_i32 s2, s2, 1
	s_bfe_u32 s5, ttmp6, 0x40008
	s_mul_i32 s4, s3, s2
	s_getreg_b32 s2, hwreg(HW_REG_IB_STS2, 6, 4)
	s_add_co_i32 s5, s5, s4
	s_cmp_eq_u32 s2, 0
	s_cselect_b32 s13, s3, s5
	s_wait_kmcnt 0x0
	s_cmp_ge_u32 s13, s12
	s_cbranch_scc1 .LBB16_47
; %bb.1:
	s_clause 0x1
	s_load_b32 s4, s[0:1], 0x18
	s_load_b64 s[14:15], s[0:1], 0x0
	s_bfe_u32 s3, ttmp6, 0x4000c
	s_and_b32 s5, ttmp6, 15
	s_add_co_i32 s3, s3, 1
	v_dual_mov_b32 v5, 0 :: v_dual_bitop2_b32 v1, 31, v0 bitop3:0x40
	s_mul_i32 s3, ttmp9, s3
	v_mbcnt_lo_u32_b32 v11, -1, 0
	s_add_co_i32 s3, s5, s3
	s_clause 0x1
	s_load_b64 s[6:7], s[0:1], 0x30
	s_load_b128 s[8:11], s[0:1], 0x8
	v_lshlrev_b32_e32 v7, 3, v1
	v_lshl_or_b32 v8, v11, 2, 64
	s_wait_kmcnt 0x0
	s_ashr_i32 s5, s4, 31
	s_cmp_eq_u32 s2, 0
	s_mov_b32 s0, s14
	s_cselect_b32 s3, ttmp9, s3
	s_ashr_i32 s1, s14, 31
	v_lshl_or_b32 v4, s3, 10, v0
	v_cmp_eq_u32_e64 s2, 0, v0
	s_delay_alu instid0(VALU_DEP_2)
	v_mul_u64_e32 v[2:3], s[4:5], v[4:5]
	v_cmp_gt_i64_e32 vcc_lo, s[0:1], v[4:5]
	v_cmp_gt_u32_e64 s1, 24, v11
	v_add_nc_u32_e32 v6, 1, v4
	v_cmp_gt_u32_e64 s0, 32, v0
	s_mul_i32 s4, s13, s15
	s_lshl_b32 s15, s15, 16
	v_cndmask_b32_e64 v4, 0, 8, s1
	v_cmp_gt_u32_e64 s1, 28, v11
	s_add_co_i32 s14, s3, s4
	s_lshl_b64 s[10:11], s[10:11], 2
	v_add_lshl_u32 v9, v4, v11, 2
	v_cndmask_b32_e64 v5, 0, 4, s1
	v_cmp_gt_u32_e64 s1, 30, v11
	s_delay_alu instid0(VALU_DEP_2) | instskip(NEXT) | instid1(VALU_DEP_2)
	v_add_lshl_u32 v10, v5, v11, 2
	v_cndmask_b32_e64 v12, 0, 2, s1
	v_cmp_ne_u32_e64 s1, 31, v11
	s_delay_alu instid0(VALU_DEP_1) | instskip(SKIP_1) | instid1(VALU_DEP_4)
	v_add_co_ci_u32_e64 v13, null, 0, v11, s1
	v_lshrrev_b32_e32 v4, 2, v0
	v_add_lshl_u32 v11, v12, v11, 2
	v_cmp_eq_u32_e64 s1, 0, v1
	s_delay_alu instid0(VALU_DEP_4) | instskip(NEXT) | instid1(VALU_DEP_4)
	v_lshlrev_b32_e32 v12, 2, v13
	v_and_b32_e32 v13, 0xf8, v4
	v_mov_b64_e32 v[4:5], 0
	s_branch .LBB16_3
.LBB16_2:                               ;   in Loop: Header=BB16_3 Depth=1
	s_wait_xcnt 0x0
	s_or_b32 exec_lo, exec_lo, s3
	s_add_co_i32 s13, s13, 0x10000
	s_add_co_i32 s14, s14, s15
	s_cmp_lt_u32 s13, s12
	s_cbranch_scc0 .LBB16_47
.LBB16_3:                               ; =>This Inner Loop Header: Depth=1
	s_wait_dscnt 0x0
	v_mov_b32_e32 v0, 0
	s_and_saveexec_b32 s4, vcc_lo
	s_cbranch_execz .LBB16_5
; %bb.4:                                ;   in Loop: Header=BB16_3 Depth=1
	v_mov_b32_e32 v0, s13
	global_load_b64 v[0:1], v0, s[8:9] scale_offset
	s_wait_loadcnt 0x0
	s_wait_xcnt 0x0
	v_add_nc_u64_e32 v[0:1], s[10:11], v[0:1]
	s_delay_alu instid0(VALU_DEP_1) | instskip(SKIP_4) | instid1(VALU_DEP_1)
	v_lshl_add_u64 v[0:1], v[2:3], 2, v[0:1]
	flat_load_b32 v0, v[0:1]
	s_wait_loadcnt_dscnt 0x0
	v_cmp_gt_f32_e64 s3, 0, v0
	s_wait_xcnt 0x0
	v_dual_cndmask_b32 v1, v0, -v0, s3 :: v_dual_mov_b32 v0, v6
.LBB16_5:                               ;   in Loop: Header=BB16_3 Depth=1
	s_or_b32 exec_lo, exec_lo, s4
	s_and_saveexec_b32 s3, s0
; %bb.6:                                ;   in Loop: Header=BB16_3 Depth=1
	ds_store_b64 v7, v[4:5]
; %bb.7:                                ;   in Loop: Header=BB16_3 Depth=1
	s_or_b32 exec_lo, exec_lo, s3
	ds_bpermute_b32 v14, v8, v0
	ds_bpermute_b32 v15, v8, v1
	s_mov_b32 s16, exec_lo
	s_wait_dscnt 0x0
	s_barrier_signal -1
	s_barrier_wait -1
	v_cmpx_ne_u32_e32 0, v14
; %bb.8:                                ;   in Loop: Header=BB16_3 Depth=1
	v_cmp_eq_u32_e64 s3, 0, v0
	v_cmp_gt_f32_e64 s4, v1, v15
	v_cmp_eq_f32_e64 s5, v1, v15
	s_or_b32 s3, s3, s4
	s_delay_alu instid0(SALU_CYCLE_1) | instskip(NEXT) | instid1(VALU_DEP_1)
	v_dual_cndmask_b32 v1, v1, v15, s3 :: v_dual_min_i32 v16, v14, v0
	v_cndmask_b32_e64 v0, v0, v16, s5
	s_delay_alu instid0(VALU_DEP_1)
	v_cndmask_b32_e64 v0, v0, v14, s3
; %bb.9:                                ;   in Loop: Header=BB16_3 Depth=1
	s_or_b32 exec_lo, exec_lo, s16
	ds_bpermute_b32 v15, v9, v0
	ds_bpermute_b32 v16, v9, v1
	v_mov_b32_e32 v14, v1
	s_mov_b32 s5, exec_lo
	s_wait_dscnt 0x1
	v_cmpx_ne_u32_e32 0, v15
	s_cbranch_execz .LBB16_13
; %bb.10:                               ;   in Loop: Header=BB16_3 Depth=1
	v_cmp_ne_u32_e64 s3, 0, v0
	s_wait_dscnt 0x0
	v_cmp_ngt_f32_e64 s4, v1, v16
	s_and_b32 s3, s3, s4
	s_delay_alu instid0(SALU_CYCLE_1)
	s_and_saveexec_b32 s4, s3
; %bb.11:                               ;   in Loop: Header=BB16_3 Depth=1
	v_min_i32_e32 v14, v15, v0
	v_cmp_eq_f32_e64 s3, v1, v16
	s_delay_alu instid0(VALU_DEP_1)
	v_dual_mov_b32 v16, v1 :: v_dual_cndmask_b32 v15, v0, v14, s3
; %bb.12:                               ;   in Loop: Header=BB16_3 Depth=1
	s_or_b32 exec_lo, exec_lo, s4
	s_delay_alu instid0(VALU_DEP_1)
	v_dual_mov_b32 v1, v16 :: v_dual_mov_b32 v0, v15
	v_mov_b32_e32 v14, v16
.LBB16_13:                              ;   in Loop: Header=BB16_3 Depth=1
	s_or_b32 exec_lo, exec_lo, s5
	ds_bpermute_b32 v15, v10, v0
	s_wait_dscnt 0x1
	ds_bpermute_b32 v16, v10, v1
	s_mov_b32 s5, exec_lo
	s_wait_dscnt 0x1
	v_cmpx_ne_u32_e32 0, v15
	s_cbranch_execz .LBB16_17
; %bb.14:                               ;   in Loop: Header=BB16_3 Depth=1
	v_cmp_ne_u32_e64 s3, 0, v0
	s_wait_dscnt 0x0
	v_cmp_ngt_f32_e64 s4, v14, v16
	v_mov_b32_e32 v17, v16
	s_and_b32 s3, s3, s4
	s_delay_alu instid0(SALU_CYCLE_1)
	s_and_saveexec_b32 s4, s3
; %bb.15:                               ;   in Loop: Header=BB16_3 Depth=1
	v_dual_mov_b32 v17, v14 :: v_dual_min_i32 v15, v15, v0
	v_cmp_eq_f32_e64 s3, v14, v16
	s_delay_alu instid0(VALU_DEP_1)
	v_dual_mov_b32 v16, v1 :: v_dual_cndmask_b32 v15, v0, v15, s3
; %bb.16:                               ;   in Loop: Header=BB16_3 Depth=1
	s_or_b32 exec_lo, exec_lo, s4
	s_delay_alu instid0(VALU_DEP_1)
	v_dual_mov_b32 v1, v16 :: v_dual_mov_b32 v0, v15
	v_mov_b32_e32 v14, v17
.LBB16_17:                              ;   in Loop: Header=BB16_3 Depth=1
	s_or_b32 exec_lo, exec_lo, s5
	ds_bpermute_b32 v15, v11, v0
	s_wait_dscnt 0x1
	ds_bpermute_b32 v16, v11, v1
	s_mov_b32 s5, exec_lo
	s_wait_dscnt 0x1
	v_cmpx_ne_u32_e32 0, v15
	s_cbranch_execz .LBB16_21
; %bb.18:                               ;   in Loop: Header=BB16_3 Depth=1
	v_cmp_ne_u32_e64 s3, 0, v0
	s_wait_dscnt 0x0
	v_cmp_ngt_f32_e64 s4, v14, v16
	v_mov_b32_e32 v17, v16
	s_and_b32 s3, s3, s4
	s_delay_alu instid0(SALU_CYCLE_1)
	s_and_saveexec_b32 s4, s3
; %bb.19:                               ;   in Loop: Header=BB16_3 Depth=1
	v_dual_mov_b32 v17, v14 :: v_dual_min_i32 v15, v15, v0
	v_cmp_eq_f32_e64 s3, v14, v16
	s_delay_alu instid0(VALU_DEP_1)
	v_dual_mov_b32 v16, v1 :: v_dual_cndmask_b32 v15, v0, v15, s3
; %bb.20:                               ;   in Loop: Header=BB16_3 Depth=1
	s_or_b32 exec_lo, exec_lo, s4
	s_delay_alu instid0(VALU_DEP_1)
	v_dual_mov_b32 v1, v16 :: v_dual_mov_b32 v0, v15
	v_mov_b32_e32 v14, v17
.LBB16_21:                              ;   in Loop: Header=BB16_3 Depth=1
	s_or_b32 exec_lo, exec_lo, s5
	ds_bpermute_b32 v15, v12, v0
	s_wait_dscnt 0x1
	ds_bpermute_b32 v16, v12, v1
	s_mov_b32 s16, exec_lo
	s_wait_dscnt 0x1
	v_cmpx_ne_u32_e32 0, v15
	s_cbranch_execz .LBB16_23
; %bb.22:                               ;   in Loop: Header=BB16_3 Depth=1
	v_cmp_eq_u32_e64 s3, 0, v0
	s_wait_dscnt 0x0
	v_cmp_gt_f32_e64 s4, v14, v16
	v_cmp_eq_f32_e64 s5, v14, v16
	s_or_b32 s3, s3, s4
	v_min_i32_e32 v17, v15, v0
	s_delay_alu instid0(VALU_DEP_1) | instskip(NEXT) | instid1(VALU_DEP_1)
	v_dual_cndmask_b32 v1, v1, v16, s3 :: v_dual_cndmask_b32 v0, v0, v17, s5
	v_cndmask_b32_e64 v0, v0, v15, s3
.LBB16_23:                              ;   in Loop: Header=BB16_3 Depth=1
	s_or_b32 exec_lo, exec_lo, s16
	s_and_saveexec_b32 s3, s1
; %bb.24:                               ;   in Loop: Header=BB16_3 Depth=1
	ds_store_b64 v13, v[0:1]
; %bb.25:                               ;   in Loop: Header=BB16_3 Depth=1
	s_or_b32 exec_lo, exec_lo, s3
	v_dual_mov_b32 v0, 0 :: v_dual_mov_b32 v1, 0
	s_wait_dscnt 0x0
	s_barrier_signal -1
	s_barrier_wait -1
	s_and_saveexec_b32 s3, s0
	s_cbranch_execnz .LBB16_28
; %bb.26:                               ;   in Loop: Header=BB16_3 Depth=1
	s_or_b32 exec_lo, exec_lo, s3
	s_and_saveexec_b32 s16, s0
	s_cbranch_execnz .LBB16_29
.LBB16_27:                              ;   in Loop: Header=BB16_3 Depth=1
	s_or_b32 exec_lo, exec_lo, s16
	s_and_saveexec_b32 s3, s2
	s_cbranch_execz .LBB16_2
	s_branch .LBB16_46
.LBB16_28:                              ;   in Loop: Header=BB16_3 Depth=1
	ds_load_b64 v[0:1], v7
	s_or_b32 exec_lo, exec_lo, s3
	s_and_saveexec_b32 s16, s0
	s_cbranch_execz .LBB16_27
.LBB16_29:                              ;   in Loop: Header=BB16_3 Depth=1
	s_wait_dscnt 0x0
	ds_bpermute_b32 v14, v8, v0
	ds_bpermute_b32 v15, v8, v1
	s_mov_b32 s17, exec_lo
	s_wait_dscnt 0x1
	v_cmpx_ne_u32_e32 0, v14
	s_cbranch_execz .LBB16_31
; %bb.30:                               ;   in Loop: Header=BB16_3 Depth=1
	v_cmp_eq_u32_e64 s3, 0, v0
	s_wait_dscnt 0x0
	v_cmp_gt_f32_e64 s4, v1, v15
	v_cmp_eq_f32_e64 s5, v1, v15
	s_or_b32 s3, s3, s4
	s_delay_alu instid0(SALU_CYCLE_1) | instskip(NEXT) | instid1(VALU_DEP_1)
	v_dual_cndmask_b32 v1, v1, v15, s3 :: v_dual_min_i32 v16, v14, v0
	v_cndmask_b32_e64 v0, v0, v16, s5
	s_delay_alu instid0(VALU_DEP_1)
	v_cndmask_b32_e64 v0, v0, v14, s3
.LBB16_31:                              ;   in Loop: Header=BB16_3 Depth=1
	s_or_b32 exec_lo, exec_lo, s17
	s_wait_dscnt 0x0
	ds_bpermute_b32 v15, v9, v0
	ds_bpermute_b32 v16, v9, v1
	v_mov_b32_e32 v14, v1
	s_mov_b32 s5, exec_lo
	s_wait_dscnt 0x1
	v_cmpx_ne_u32_e32 0, v15
	s_cbranch_execz .LBB16_35
; %bb.32:                               ;   in Loop: Header=BB16_3 Depth=1
	v_cmp_ne_u32_e64 s3, 0, v0
	s_wait_dscnt 0x0
	v_cmp_ngt_f32_e64 s4, v1, v16
	s_and_b32 s3, s3, s4
	s_delay_alu instid0(SALU_CYCLE_1)
	s_and_saveexec_b32 s4, s3
; %bb.33:                               ;   in Loop: Header=BB16_3 Depth=1
	v_min_i32_e32 v14, v15, v0
	v_cmp_eq_f32_e64 s3, v1, v16
	s_delay_alu instid0(VALU_DEP_1)
	v_dual_mov_b32 v16, v1 :: v_dual_cndmask_b32 v15, v0, v14, s3
; %bb.34:                               ;   in Loop: Header=BB16_3 Depth=1
	s_or_b32 exec_lo, exec_lo, s4
	s_delay_alu instid0(VALU_DEP_1)
	v_dual_mov_b32 v1, v16 :: v_dual_mov_b32 v0, v15
	v_mov_b32_e32 v14, v16
.LBB16_35:                              ;   in Loop: Header=BB16_3 Depth=1
	s_or_b32 exec_lo, exec_lo, s5
	ds_bpermute_b32 v15, v10, v0
	s_wait_dscnt 0x1
	ds_bpermute_b32 v16, v10, v1
	s_mov_b32 s5, exec_lo
	s_wait_dscnt 0x1
	v_cmpx_ne_u32_e32 0, v15
	s_cbranch_execz .LBB16_39
; %bb.36:                               ;   in Loop: Header=BB16_3 Depth=1
	v_cmp_ne_u32_e64 s3, 0, v0
	s_wait_dscnt 0x0
	v_cmp_ngt_f32_e64 s4, v14, v16
	v_mov_b32_e32 v17, v16
	s_and_b32 s3, s3, s4
	s_delay_alu instid0(SALU_CYCLE_1)
	s_and_saveexec_b32 s4, s3
; %bb.37:                               ;   in Loop: Header=BB16_3 Depth=1
	v_dual_mov_b32 v17, v14 :: v_dual_min_i32 v15, v15, v0
	v_cmp_eq_f32_e64 s3, v14, v16
	s_delay_alu instid0(VALU_DEP_1)
	v_dual_mov_b32 v16, v1 :: v_dual_cndmask_b32 v15, v0, v15, s3
; %bb.38:                               ;   in Loop: Header=BB16_3 Depth=1
	s_or_b32 exec_lo, exec_lo, s4
	s_delay_alu instid0(VALU_DEP_1)
	v_dual_mov_b32 v1, v16 :: v_dual_mov_b32 v0, v15
	v_mov_b32_e32 v14, v17
.LBB16_39:                              ;   in Loop: Header=BB16_3 Depth=1
	s_or_b32 exec_lo, exec_lo, s5
	ds_bpermute_b32 v15, v11, v0
	s_wait_dscnt 0x1
	ds_bpermute_b32 v16, v11, v1
	s_mov_b32 s5, exec_lo
	s_wait_dscnt 0x1
	v_cmpx_ne_u32_e32 0, v15
	s_cbranch_execz .LBB16_43
; %bb.40:                               ;   in Loop: Header=BB16_3 Depth=1
	v_cmp_ne_u32_e64 s3, 0, v0
	s_wait_dscnt 0x0
	v_cmp_ngt_f32_e64 s4, v14, v16
	v_mov_b32_e32 v17, v16
	s_and_b32 s3, s3, s4
	s_delay_alu instid0(SALU_CYCLE_1)
	s_and_saveexec_b32 s4, s3
; %bb.41:                               ;   in Loop: Header=BB16_3 Depth=1
	v_dual_mov_b32 v17, v14 :: v_dual_min_i32 v15, v15, v0
	v_cmp_eq_f32_e64 s3, v14, v16
	s_delay_alu instid0(VALU_DEP_1)
	v_dual_mov_b32 v16, v1 :: v_dual_cndmask_b32 v15, v0, v15, s3
; %bb.42:                               ;   in Loop: Header=BB16_3 Depth=1
	s_or_b32 exec_lo, exec_lo, s4
	s_delay_alu instid0(VALU_DEP_1)
	v_dual_mov_b32 v1, v16 :: v_dual_mov_b32 v0, v15
	v_mov_b32_e32 v14, v17
.LBB16_43:                              ;   in Loop: Header=BB16_3 Depth=1
	s_or_b32 exec_lo, exec_lo, s5
	ds_bpermute_b32 v15, v12, v0
	s_wait_dscnt 0x1
	ds_bpermute_b32 v16, v12, v1
	s_mov_b32 s17, exec_lo
	s_wait_dscnt 0x1
	v_cmpx_ne_u32_e32 0, v15
	s_cbranch_execz .LBB16_45
; %bb.44:                               ;   in Loop: Header=BB16_3 Depth=1
	v_cmp_eq_u32_e64 s3, 0, v0
	s_wait_dscnt 0x0
	v_cmp_gt_f32_e64 s4, v14, v16
	v_cmp_eq_f32_e64 s5, v14, v16
	s_or_b32 s3, s3, s4
	v_min_i32_e32 v17, v15, v0
	s_delay_alu instid0(VALU_DEP_1) | instskip(NEXT) | instid1(VALU_DEP_1)
	v_dual_cndmask_b32 v1, v1, v16, s3 :: v_dual_cndmask_b32 v0, v0, v17, s5
	v_cndmask_b32_e64 v0, v0, v15, s3
.LBB16_45:                              ;   in Loop: Header=BB16_3 Depth=1
	s_or_b32 exec_lo, exec_lo, s17
	s_delay_alu instid0(SALU_CYCLE_1)
	s_or_b32 exec_lo, exec_lo, s16
	s_and_saveexec_b32 s3, s2
	s_cbranch_execz .LBB16_2
.LBB16_46:                              ;   in Loop: Header=BB16_3 Depth=1
	v_mov_b32_e32 v14, s14
	s_wait_dscnt 0x0
	global_store_b64 v14, v[0:1], s[6:7] scale_offset
	s_branch .LBB16_2
.LBB16_47:
	s_endpgm
	.section	.rodata,"a",@progbits
	.p2align	6, 0x0
	.amdhsa_kernel _ZL32rocblas_iamax_iamin_kernel_part1ILi1024E23rocblas_fetch_amax_aminIfE19rocblas_reduce_aminPKPKf21rocblas_index_value_tIfEEviiT2_liliPT3_
		.amdhsa_group_segment_fixed_size 256
		.amdhsa_private_segment_fixed_size 0
		.amdhsa_kernarg_size 56
		.amdhsa_user_sgpr_count 2
		.amdhsa_user_sgpr_dispatch_ptr 0
		.amdhsa_user_sgpr_queue_ptr 0
		.amdhsa_user_sgpr_kernarg_segment_ptr 1
		.amdhsa_user_sgpr_dispatch_id 0
		.amdhsa_user_sgpr_kernarg_preload_length 0
		.amdhsa_user_sgpr_kernarg_preload_offset 0
		.amdhsa_user_sgpr_private_segment_size 0
		.amdhsa_wavefront_size32 1
		.amdhsa_uses_dynamic_stack 0
		.amdhsa_enable_private_segment 0
		.amdhsa_system_sgpr_workgroup_id_x 1
		.amdhsa_system_sgpr_workgroup_id_y 0
		.amdhsa_system_sgpr_workgroup_id_z 1
		.amdhsa_system_sgpr_workgroup_info 0
		.amdhsa_system_vgpr_workitem_id 0
		.amdhsa_next_free_vgpr 18
		.amdhsa_next_free_sgpr 18
		.amdhsa_named_barrier_count 0
		.amdhsa_reserve_vcc 1
		.amdhsa_float_round_mode_32 0
		.amdhsa_float_round_mode_16_64 0
		.amdhsa_float_denorm_mode_32 3
		.amdhsa_float_denorm_mode_16_64 3
		.amdhsa_fp16_overflow 0
		.amdhsa_memory_ordered 1
		.amdhsa_forward_progress 1
		.amdhsa_inst_pref_size 15
		.amdhsa_round_robin_scheduling 0
		.amdhsa_exception_fp_ieee_invalid_op 0
		.amdhsa_exception_fp_denorm_src 0
		.amdhsa_exception_fp_ieee_div_zero 0
		.amdhsa_exception_fp_ieee_overflow 0
		.amdhsa_exception_fp_ieee_underflow 0
		.amdhsa_exception_fp_ieee_inexact 0
		.amdhsa_exception_int_div_zero 0
	.end_amdhsa_kernel
	.section	.text._ZL32rocblas_iamax_iamin_kernel_part1ILi1024E23rocblas_fetch_amax_aminIfE19rocblas_reduce_aminPKPKf21rocblas_index_value_tIfEEviiT2_liliPT3_,"axG",@progbits,_ZL32rocblas_iamax_iamin_kernel_part1ILi1024E23rocblas_fetch_amax_aminIfE19rocblas_reduce_aminPKPKf21rocblas_index_value_tIfEEviiT2_liliPT3_,comdat
.Lfunc_end16:
	.size	_ZL32rocblas_iamax_iamin_kernel_part1ILi1024E23rocblas_fetch_amax_aminIfE19rocblas_reduce_aminPKPKf21rocblas_index_value_tIfEEviiT2_liliPT3_, .Lfunc_end16-_ZL32rocblas_iamax_iamin_kernel_part1ILi1024E23rocblas_fetch_amax_aminIfE19rocblas_reduce_aminPKPKf21rocblas_index_value_tIfEEviiT2_liliPT3_
                                        ; -- End function
	.set _ZL32rocblas_iamax_iamin_kernel_part1ILi1024E23rocblas_fetch_amax_aminIfE19rocblas_reduce_aminPKPKf21rocblas_index_value_tIfEEviiT2_liliPT3_.num_vgpr, 18
	.set _ZL32rocblas_iamax_iamin_kernel_part1ILi1024E23rocblas_fetch_amax_aminIfE19rocblas_reduce_aminPKPKf21rocblas_index_value_tIfEEviiT2_liliPT3_.num_agpr, 0
	.set _ZL32rocblas_iamax_iamin_kernel_part1ILi1024E23rocblas_fetch_amax_aminIfE19rocblas_reduce_aminPKPKf21rocblas_index_value_tIfEEviiT2_liliPT3_.numbered_sgpr, 18
	.set _ZL32rocblas_iamax_iamin_kernel_part1ILi1024E23rocblas_fetch_amax_aminIfE19rocblas_reduce_aminPKPKf21rocblas_index_value_tIfEEviiT2_liliPT3_.num_named_barrier, 0
	.set _ZL32rocblas_iamax_iamin_kernel_part1ILi1024E23rocblas_fetch_amax_aminIfE19rocblas_reduce_aminPKPKf21rocblas_index_value_tIfEEviiT2_liliPT3_.private_seg_size, 0
	.set _ZL32rocblas_iamax_iamin_kernel_part1ILi1024E23rocblas_fetch_amax_aminIfE19rocblas_reduce_aminPKPKf21rocblas_index_value_tIfEEviiT2_liliPT3_.uses_vcc, 1
	.set _ZL32rocblas_iamax_iamin_kernel_part1ILi1024E23rocblas_fetch_amax_aminIfE19rocblas_reduce_aminPKPKf21rocblas_index_value_tIfEEviiT2_liliPT3_.uses_flat_scratch, 0
	.set _ZL32rocblas_iamax_iamin_kernel_part1ILi1024E23rocblas_fetch_amax_aminIfE19rocblas_reduce_aminPKPKf21rocblas_index_value_tIfEEviiT2_liliPT3_.has_dyn_sized_stack, 0
	.set _ZL32rocblas_iamax_iamin_kernel_part1ILi1024E23rocblas_fetch_amax_aminIfE19rocblas_reduce_aminPKPKf21rocblas_index_value_tIfEEviiT2_liliPT3_.has_recursion, 0
	.set _ZL32rocblas_iamax_iamin_kernel_part1ILi1024E23rocblas_fetch_amax_aminIfE19rocblas_reduce_aminPKPKf21rocblas_index_value_tIfEEviiT2_liliPT3_.has_indirect_call, 0
	.section	.AMDGPU.csdata,"",@progbits
; Kernel info:
; codeLenInByte = 1836
; TotalNumSgprs: 20
; NumVgprs: 18
; ScratchSize: 0
; MemoryBound: 0
; FloatMode: 240
; IeeeMode: 1
; LDSByteSize: 256 bytes/workgroup (compile time only)
; SGPRBlocks: 0
; VGPRBlocks: 1
; NumSGPRsForWavesPerEU: 20
; NumVGPRsForWavesPerEU: 18
; NamedBarCnt: 0
; Occupancy: 16
; WaveLimiterHint : 1
; COMPUTE_PGM_RSRC2:SCRATCH_EN: 0
; COMPUTE_PGM_RSRC2:USER_SGPR: 2
; COMPUTE_PGM_RSRC2:TRAP_HANDLER: 0
; COMPUTE_PGM_RSRC2:TGID_X_EN: 1
; COMPUTE_PGM_RSRC2:TGID_Y_EN: 0
; COMPUTE_PGM_RSRC2:TGID_Z_EN: 1
; COMPUTE_PGM_RSRC2:TIDIG_COMP_CNT: 0
	.section	.text._ZL32rocblas_iamax_iamin_kernel_part1ILi1024E23rocblas_fetch_amax_aminIdE19rocblas_reduce_aminPKPKd21rocblas_index_value_tIdEEviiT2_liliPT3_,"axG",@progbits,_ZL32rocblas_iamax_iamin_kernel_part1ILi1024E23rocblas_fetch_amax_aminIdE19rocblas_reduce_aminPKPKd21rocblas_index_value_tIdEEviiT2_liliPT3_,comdat
	.globl	_ZL32rocblas_iamax_iamin_kernel_part1ILi1024E23rocblas_fetch_amax_aminIdE19rocblas_reduce_aminPKPKd21rocblas_index_value_tIdEEviiT2_liliPT3_ ; -- Begin function _ZL32rocblas_iamax_iamin_kernel_part1ILi1024E23rocblas_fetch_amax_aminIdE19rocblas_reduce_aminPKPKd21rocblas_index_value_tIdEEviiT2_liliPT3_
	.p2align	8
	.type	_ZL32rocblas_iamax_iamin_kernel_part1ILi1024E23rocblas_fetch_amax_aminIdE19rocblas_reduce_aminPKPKd21rocblas_index_value_tIdEEviiT2_liliPT3_,@function
_ZL32rocblas_iamax_iamin_kernel_part1ILi1024E23rocblas_fetch_amax_aminIdE19rocblas_reduce_aminPKPKd21rocblas_index_value_tIdEEviiT2_liliPT3_: ; @_ZL32rocblas_iamax_iamin_kernel_part1ILi1024E23rocblas_fetch_amax_aminIdE19rocblas_reduce_aminPKPKd21rocblas_index_value_tIdEEviiT2_liliPT3_
; %bb.0:
	s_load_b32 s14, s[0:1], 0x28
	s_bfe_u32 s2, ttmp6, 0x40014
	s_lshr_b32 s3, ttmp7, 16
	s_add_co_i32 s2, s2, 1
	s_bfe_u32 s5, ttmp6, 0x40008
	s_mul_i32 s4, s3, s2
	s_getreg_b32 s2, hwreg(HW_REG_IB_STS2, 6, 4)
	s_add_co_i32 s5, s5, s4
	s_cmp_eq_u32 s2, 0
	s_mov_b32 s7, 0
	s_cselect_b32 s15, s3, s5
	s_wait_kmcnt 0x0
	s_cmp_ge_u32 s15, s14
	s_cbranch_scc1 .LBB17_51
; %bb.1:
	s_clause 0x1
	s_load_b32 s4, s[0:1], 0x18
	s_load_b64 s[16:17], s[0:1], 0x0
	s_bfe_u32 s3, ttmp6, 0x4000c
	s_and_b32 s5, ttmp6, 15
	s_add_co_i32 s3, s3, 1
	v_dual_mov_b32 v3, 0 :: v_dual_bitop2_b32 v1, 31, v0 bitop3:0x40
	s_mul_i32 s3, ttmp9, s3
	v_mbcnt_lo_u32_b32 v6, -1, 0
	s_add_co_i32 s3, s5, s3
	s_clause 0x1
	s_load_b64 s[12:13], s[0:1], 0x30
	s_load_b128 s[8:11], s[0:1], 0x8
	v_lshlrev_b32_e32 v14, 4, v1
	v_lshl_or_b32 v15, v6, 2, 64
	s_wait_kmcnt 0x0
	s_ashr_i32 s5, s4, 31
	s_cmp_eq_u32 s2, 0
	s_mov_b32 s0, s16
	s_cselect_b32 s3, ttmp9, s3
	s_ashr_i32 s1, s16, 31
	v_lshl_or_b32 v2, s3, 10, v0
	v_cmp_eq_u32_e64 s2, 0, v0
	s_lshl_b32 s16, s17, 16
	v_mul_u64_e32 v[4:5], s[4:5], v[2:3]
	v_cmp_gt_i64_e32 vcc_lo, s[0:1], v[2:3]
	v_cmp_gt_u32_e64 s1, 24, v6
	v_add_nc_u32_e32 v2, 1, v2
	v_cmp_gt_u32_e64 s0, 32, v0
	s_mul_i32 s4, s15, s17
	s_lshl_b64 s[10:11], s[10:11], 3
	v_cndmask_b32_e64 v7, 0, 8, s1
	v_cmp_gt_u32_e64 s1, 28, v6
	s_add_co_i32 s6, s3, s4
	v_add_lshl_u32 v16, v7, v6, 2
	v_cndmask_b32_e64 v8, 0, 4, s1
	v_cmp_gt_u32_e64 s1, 30, v6
	s_delay_alu instid0(VALU_DEP_2) | instskip(NEXT) | instid1(VALU_DEP_2)
	v_add_lshl_u32 v17, v8, v6, 2
	v_cndmask_b32_e64 v9, 0, 2, s1
	v_cmp_ne_u32_e64 s1, 31, v6
	s_delay_alu instid0(VALU_DEP_2) | instskip(NEXT) | instid1(VALU_DEP_2)
	v_add_lshl_u32 v18, v9, v6, 2
	v_add_co_ci_u32_e64 v10, null, 0, v6, s1
	v_lshrrev_b32_e32 v7, 1, v0
	v_cmp_eq_u32_e64 s1, 0, v1
	s_delay_alu instid0(VALU_DEP_3) | instskip(NEXT) | instid1(VALU_DEP_3)
	v_lshlrev_b32_e32 v19, 2, v10
	v_and_b32_e32 v20, 0x1f0, v7
	v_mov_b64_e32 v[6:7], 0
	s_branch .LBB17_3
.LBB17_2:                               ;   in Loop: Header=BB17_3 Depth=1
	s_wait_xcnt 0x0
	s_or_b32 exec_lo, exec_lo, s3
	s_add_co_i32 s15, s15, 0x10000
	s_add_co_i32 s6, s6, s16
	s_cmp_lt_u32 s15, s14
	s_cbranch_scc0 .LBB17_51
.LBB17_3:                               ; =>This Inner Loop Header: Depth=1
	s_wait_dscnt 0x1
	v_mov_b32_e32 v21, 0
                                        ; implicit-def: $vgpr0_vgpr1
	s_and_saveexec_b32 s4, vcc_lo
	s_cbranch_execz .LBB17_5
; %bb.4:                                ;   in Loop: Header=BB17_3 Depth=1
	s_wait_dscnt 0x0
	v_dual_mov_b32 v0, s15 :: v_dual_mov_b32 v21, v2
	global_load_b64 v[0:1], v0, s[8:9] scale_offset
	s_wait_loadcnt 0x0
	s_wait_xcnt 0x0
	v_add_nc_u64_e32 v[0:1], s[10:11], v[0:1]
	s_delay_alu instid0(VALU_DEP_1)
	v_lshl_add_u64 v[0:1], v[4:5], 3, v[0:1]
	flat_load_b64 v[0:1], v[0:1]
	s_wait_loadcnt_dscnt 0x0
	v_cmp_gt_f64_e64 s3, 0, v[0:1]
	v_xor_b32_e32 v8, 0x80000000, v1
	s_wait_xcnt 0x0
	s_delay_alu instid0(VALU_DEP_1)
	v_cndmask_b32_e64 v1, v1, v8, s3
.LBB17_5:                               ;   in Loop: Header=BB17_3 Depth=1
	s_or_b32 exec_lo, exec_lo, s4
	s_and_saveexec_b32 s3, s0
	s_cbranch_execz .LBB17_7
; %bb.6:                                ;   in Loop: Header=BB17_3 Depth=1
	ds_store_b32 v14, v3
	ds_store_b64 v14, v[6:7] offset:8
.LBB17_7:                               ;   in Loop: Header=BB17_3 Depth=1
	s_or_b32 exec_lo, exec_lo, s3
	ds_bpermute_b32 v12, v15, v21
	s_wait_dscnt 0x1
	ds_bpermute_b32 v10, v15, v0
	ds_bpermute_b32 v11, v15, v1
	v_mov_b64_e32 v[8:9], v[0:1]
	s_mov_b32 s5, exec_lo
	s_wait_dscnt 0x0
	s_barrier_signal -1
	s_barrier_wait -1
	v_cmpx_ne_u32_e32 0, v12
	s_cbranch_execz .LBB17_11
; %bb.8:                                ;   in Loop: Header=BB17_3 Depth=1
	v_cmp_ngt_f64_e64 s3, v[0:1], v[10:11]
	v_cmp_ne_u32_e64 s4, 0, v21
	v_mov_b64_e32 v[8:9], v[10:11]
	s_and_b32 s3, s4, s3
	s_delay_alu instid0(SALU_CYCLE_1)
	s_and_saveexec_b32 s4, s3
	s_cbranch_execz .LBB17_10
; %bb.9:                                ;   in Loop: Header=BB17_3 Depth=1
	v_cmp_eq_f64_e64 s3, v[0:1], v[10:11]
	v_dual_mov_b32 v11, v1 :: v_dual_min_i32 v12, v12, v21
	v_mov_b64_e32 v[8:9], v[0:1]
	s_delay_alu instid0(VALU_DEP_2)
	v_dual_mov_b32 v10, v0 :: v_dual_cndmask_b32 v12, v21, v12, s3
.LBB17_10:                              ;   in Loop: Header=BB17_3 Depth=1
	s_or_b32 exec_lo, exec_lo, s4
	s_delay_alu instid0(VALU_DEP_1) | instskip(NEXT) | instid1(VALU_DEP_2)
	v_dual_mov_b32 v1, v11 :: v_dual_mov_b32 v0, v10
	v_mov_b32_e32 v21, v12
.LBB17_11:                              ;   in Loop: Header=BB17_3 Depth=1
	s_or_b32 exec_lo, exec_lo, s5
	ds_bpermute_b32 v22, v16, v21
	ds_bpermute_b32 v10, v16, v0
	;; [unrolled: 1-line block ×3, first 2 shown]
	s_mov_b32 s5, exec_lo
	s_wait_dscnt 0x2
	v_cmpx_ne_u32_e32 0, v22
	s_cbranch_execz .LBB17_15
; %bb.12:                               ;   in Loop: Header=BB17_3 Depth=1
	s_wait_dscnt 0x0
	v_cmp_ngt_f64_e64 s3, v[8:9], v[10:11]
	v_cmp_ne_u32_e64 s4, 0, v21
	v_mov_b64_e32 v[12:13], v[10:11]
	s_and_b32 s3, s4, s3
	s_delay_alu instid0(SALU_CYCLE_1)
	s_and_saveexec_b32 s4, s3
	s_cbranch_execz .LBB17_14
; %bb.13:                               ;   in Loop: Header=BB17_3 Depth=1
	v_cmp_eq_f64_e64 s3, v[8:9], v[10:11]
	v_dual_mov_b32 v10, v0 :: v_dual_min_i32 v22, v22, v21
	v_mov_b64_e32 v[12:13], v[8:9]
	v_mov_b32_e32 v11, v1
	s_delay_alu instid0(VALU_DEP_3)
	v_cndmask_b32_e64 v22, v21, v22, s3
.LBB17_14:                              ;   in Loop: Header=BB17_3 Depth=1
	s_or_b32 exec_lo, exec_lo, s4
	s_delay_alu instid0(VALU_DEP_1) | instskip(NEXT) | instid1(VALU_DEP_3)
	v_mov_b64_e32 v[8:9], v[12:13]
	v_dual_mov_b32 v1, v11 :: v_dual_mov_b32 v0, v10
	s_delay_alu instid0(VALU_DEP_3)
	v_mov_b32_e32 v21, v22
.LBB17_15:                              ;   in Loop: Header=BB17_3 Depth=1
	s_or_b32 exec_lo, exec_lo, s5
	ds_bpermute_b32 v22, v17, v21
	s_wait_dscnt 0x2
	ds_bpermute_b32 v10, v17, v0
	s_wait_dscnt 0x2
	ds_bpermute_b32 v11, v17, v1
	s_mov_b32 s5, exec_lo
	s_wait_dscnt 0x2
	v_cmpx_ne_u32_e32 0, v22
	s_cbranch_execz .LBB17_19
; %bb.16:                               ;   in Loop: Header=BB17_3 Depth=1
	s_wait_dscnt 0x0
	v_cmp_ngt_f64_e64 s3, v[8:9], v[10:11]
	v_cmp_ne_u32_e64 s4, 0, v21
	v_mov_b64_e32 v[12:13], v[10:11]
	s_and_b32 s3, s4, s3
	s_delay_alu instid0(SALU_CYCLE_1)
	s_and_saveexec_b32 s4, s3
	s_cbranch_execz .LBB17_18
; %bb.17:                               ;   in Loop: Header=BB17_3 Depth=1
	v_cmp_eq_f64_e64 s3, v[8:9], v[10:11]
	v_dual_mov_b32 v10, v0 :: v_dual_min_i32 v22, v22, v21
	v_mov_b64_e32 v[12:13], v[8:9]
	v_mov_b32_e32 v11, v1
	s_delay_alu instid0(VALU_DEP_3)
	v_cndmask_b32_e64 v22, v21, v22, s3
.LBB17_18:                              ;   in Loop: Header=BB17_3 Depth=1
	s_or_b32 exec_lo, exec_lo, s4
	s_delay_alu instid0(VALU_DEP_1) | instskip(NEXT) | instid1(VALU_DEP_3)
	v_mov_b64_e32 v[8:9], v[12:13]
	v_dual_mov_b32 v1, v11 :: v_dual_mov_b32 v0, v10
	s_delay_alu instid0(VALU_DEP_3)
	v_mov_b32_e32 v21, v22
.LBB17_19:                              ;   in Loop: Header=BB17_3 Depth=1
	s_or_b32 exec_lo, exec_lo, s5
	ds_bpermute_b32 v22, v18, v21
	s_wait_dscnt 0x2
	ds_bpermute_b32 v10, v18, v0
	s_wait_dscnt 0x2
	ds_bpermute_b32 v11, v18, v1
	s_mov_b32 s5, exec_lo
	s_wait_dscnt 0x2
	v_cmpx_ne_u32_e32 0, v22
	s_cbranch_execz .LBB17_23
; %bb.20:                               ;   in Loop: Header=BB17_3 Depth=1
	s_wait_dscnt 0x0
	v_cmp_ngt_f64_e64 s3, v[8:9], v[10:11]
	v_cmp_ne_u32_e64 s4, 0, v21
	v_mov_b64_e32 v[12:13], v[10:11]
	s_and_b32 s3, s4, s3
	s_delay_alu instid0(SALU_CYCLE_1)
	s_and_saveexec_b32 s4, s3
	s_cbranch_execz .LBB17_22
; %bb.21:                               ;   in Loop: Header=BB17_3 Depth=1
	v_cmp_eq_f64_e64 s3, v[8:9], v[10:11]
	v_dual_mov_b32 v10, v0 :: v_dual_min_i32 v22, v22, v21
	v_mov_b64_e32 v[12:13], v[8:9]
	v_mov_b32_e32 v11, v1
	s_delay_alu instid0(VALU_DEP_3)
	v_cndmask_b32_e64 v22, v21, v22, s3
.LBB17_22:                              ;   in Loop: Header=BB17_3 Depth=1
	s_or_b32 exec_lo, exec_lo, s4
	s_delay_alu instid0(VALU_DEP_1) | instskip(NEXT) | instid1(VALU_DEP_3)
	v_mov_b64_e32 v[8:9], v[12:13]
	v_dual_mov_b32 v1, v11 :: v_dual_mov_b32 v0, v10
	s_delay_alu instid0(VALU_DEP_3)
	v_mov_b32_e32 v21, v22
.LBB17_23:                              ;   in Loop: Header=BB17_3 Depth=1
	s_or_b32 exec_lo, exec_lo, s5
	s_wait_dscnt 0x1
	ds_bpermute_b32 v10, v19, v21
	ds_bpermute_b32 v0, v19, v0
	ds_bpermute_b32 v1, v19, v1
	s_mov_b32 s17, exec_lo
	s_wait_dscnt 0x2
	v_cmpx_ne_u32_e32 0, v10
	s_cbranch_execz .LBB17_25
; %bb.24:                               ;   in Loop: Header=BB17_3 Depth=1
	s_wait_dscnt 0x0
	v_cmp_gt_f64_e64 s3, v[8:9], v[0:1]
	v_cmp_eq_f64_e64 s5, v[8:9], v[0:1]
	v_cmp_eq_u32_e64 s4, 0, v21
	s_or_b32 s3, s4, s3
	s_delay_alu instid0(SALU_CYCLE_1) | instskip(SKIP_1) | instid1(VALU_DEP_2)
	v_dual_cndmask_b32 v8, v8, v0, s3 :: v_dual_min_i32 v11, v10, v21
	v_cndmask_b32_e64 v9, v9, v1, s3
	v_cndmask_b32_e64 v11, v21, v11, s5
	s_delay_alu instid0(VALU_DEP_1)
	v_cndmask_b32_e64 v21, v11, v10, s3
.LBB17_25:                              ;   in Loop: Header=BB17_3 Depth=1
	s_or_b32 exec_lo, exec_lo, s17
	s_and_saveexec_b32 s3, s1
	s_cbranch_execz .LBB17_27
; %bb.26:                               ;   in Loop: Header=BB17_3 Depth=1
	ds_store_b32 v20, v21
	ds_store_b64 v20, v[8:9] offset:8
.LBB17_27:                              ;   in Loop: Header=BB17_3 Depth=1
	s_or_b32 exec_lo, exec_lo, s3
	s_wait_dscnt 0x0
	v_mov_b64_e32 v[0:1], 0
	v_mov_b32_e32 v21, 0
	s_barrier_signal -1
	s_barrier_wait -1
	s_and_saveexec_b32 s3, s0
	s_cbranch_execnz .LBB17_30
; %bb.28:                               ;   in Loop: Header=BB17_3 Depth=1
	s_or_b32 exec_lo, exec_lo, s3
	s_and_saveexec_b32 s17, s0
	s_cbranch_execnz .LBB17_31
.LBB17_29:                              ;   in Loop: Header=BB17_3 Depth=1
	s_or_b32 exec_lo, exec_lo, s17
	s_and_saveexec_b32 s3, s2
	s_cbranch_execz .LBB17_2
	s_branch .LBB17_50
.LBB17_30:                              ;   in Loop: Header=BB17_3 Depth=1
	ds_load_b32 v21, v14
	ds_load_b64 v[0:1], v14 offset:8
	s_or_b32 exec_lo, exec_lo, s3
	s_and_saveexec_b32 s17, s0
	s_cbranch_execz .LBB17_29
.LBB17_31:                              ;   in Loop: Header=BB17_3 Depth=1
	s_wait_dscnt 0x1
	ds_bpermute_b32 v12, v15, v21
	s_wait_dscnt 0x1
	ds_bpermute_b32 v10, v15, v0
	ds_bpermute_b32 v11, v15, v1
	v_mov_b64_e32 v[8:9], v[0:1]
	s_mov_b32 s5, exec_lo
	s_wait_dscnt 0x2
	v_cmpx_ne_u32_e32 0, v12
	s_cbranch_execz .LBB17_35
; %bb.32:                               ;   in Loop: Header=BB17_3 Depth=1
	s_wait_dscnt 0x0
	v_cmp_ngt_f64_e64 s3, v[0:1], v[10:11]
	v_cmp_ne_u32_e64 s4, 0, v21
	v_mov_b64_e32 v[8:9], v[10:11]
	s_and_b32 s3, s4, s3
	s_delay_alu instid0(SALU_CYCLE_1)
	s_and_saveexec_b32 s4, s3
	s_cbranch_execz .LBB17_34
; %bb.33:                               ;   in Loop: Header=BB17_3 Depth=1
	v_cmp_eq_f64_e64 s3, v[0:1], v[10:11]
	v_dual_mov_b32 v11, v1 :: v_dual_min_i32 v12, v12, v21
	v_mov_b64_e32 v[8:9], v[0:1]
	s_delay_alu instid0(VALU_DEP_2)
	v_dual_mov_b32 v10, v0 :: v_dual_cndmask_b32 v12, v21, v12, s3
.LBB17_34:                              ;   in Loop: Header=BB17_3 Depth=1
	s_or_b32 exec_lo, exec_lo, s4
	s_delay_alu instid0(VALU_DEP_1) | instskip(NEXT) | instid1(VALU_DEP_2)
	v_dual_mov_b32 v1, v11 :: v_dual_mov_b32 v0, v10
	v_mov_b32_e32 v21, v12
.LBB17_35:                              ;   in Loop: Header=BB17_3 Depth=1
	s_or_b32 exec_lo, exec_lo, s5
	ds_bpermute_b32 v22, v16, v21
	s_wait_dscnt 0x2
	ds_bpermute_b32 v10, v16, v0
	s_wait_dscnt 0x2
	ds_bpermute_b32 v11, v16, v1
	s_mov_b32 s5, exec_lo
	s_wait_dscnt 0x2
	v_cmpx_ne_u32_e32 0, v22
	s_cbranch_execz .LBB17_39
; %bb.36:                               ;   in Loop: Header=BB17_3 Depth=1
	s_wait_dscnt 0x0
	v_cmp_ngt_f64_e64 s3, v[8:9], v[10:11]
	v_cmp_ne_u32_e64 s4, 0, v21
	v_mov_b64_e32 v[12:13], v[10:11]
	s_and_b32 s3, s4, s3
	s_delay_alu instid0(SALU_CYCLE_1)
	s_and_saveexec_b32 s4, s3
	s_cbranch_execz .LBB17_38
; %bb.37:                               ;   in Loop: Header=BB17_3 Depth=1
	v_cmp_eq_f64_e64 s3, v[8:9], v[10:11]
	v_dual_mov_b32 v10, v0 :: v_dual_min_i32 v22, v22, v21
	v_mov_b64_e32 v[12:13], v[8:9]
	v_mov_b32_e32 v11, v1
	s_delay_alu instid0(VALU_DEP_3)
	v_cndmask_b32_e64 v22, v21, v22, s3
.LBB17_38:                              ;   in Loop: Header=BB17_3 Depth=1
	s_or_b32 exec_lo, exec_lo, s4
	s_delay_alu instid0(VALU_DEP_1) | instskip(NEXT) | instid1(VALU_DEP_3)
	v_mov_b64_e32 v[8:9], v[12:13]
	v_dual_mov_b32 v1, v11 :: v_dual_mov_b32 v0, v10
	s_delay_alu instid0(VALU_DEP_3)
	v_mov_b32_e32 v21, v22
.LBB17_39:                              ;   in Loop: Header=BB17_3 Depth=1
	s_or_b32 exec_lo, exec_lo, s5
	ds_bpermute_b32 v22, v17, v21
	s_wait_dscnt 0x2
	ds_bpermute_b32 v10, v17, v0
	s_wait_dscnt 0x2
	ds_bpermute_b32 v11, v17, v1
	s_mov_b32 s5, exec_lo
	s_wait_dscnt 0x2
	v_cmpx_ne_u32_e32 0, v22
	s_cbranch_execz .LBB17_43
; %bb.40:                               ;   in Loop: Header=BB17_3 Depth=1
	s_wait_dscnt 0x0
	v_cmp_ngt_f64_e64 s3, v[8:9], v[10:11]
	v_cmp_ne_u32_e64 s4, 0, v21
	v_mov_b64_e32 v[12:13], v[10:11]
	s_and_b32 s3, s4, s3
	s_delay_alu instid0(SALU_CYCLE_1)
	s_and_saveexec_b32 s4, s3
	s_cbranch_execz .LBB17_42
; %bb.41:                               ;   in Loop: Header=BB17_3 Depth=1
	v_cmp_eq_f64_e64 s3, v[8:9], v[10:11]
	v_dual_mov_b32 v10, v0 :: v_dual_min_i32 v22, v22, v21
	v_mov_b64_e32 v[12:13], v[8:9]
	v_mov_b32_e32 v11, v1
	s_delay_alu instid0(VALU_DEP_3)
	v_cndmask_b32_e64 v22, v21, v22, s3
.LBB17_42:                              ;   in Loop: Header=BB17_3 Depth=1
	s_or_b32 exec_lo, exec_lo, s4
	s_delay_alu instid0(VALU_DEP_1) | instskip(NEXT) | instid1(VALU_DEP_3)
	v_mov_b64_e32 v[8:9], v[12:13]
	v_dual_mov_b32 v1, v11 :: v_dual_mov_b32 v0, v10
	s_delay_alu instid0(VALU_DEP_3)
	v_mov_b32_e32 v21, v22
.LBB17_43:                              ;   in Loop: Header=BB17_3 Depth=1
	;; [unrolled: 34-line block ×3, first 2 shown]
	s_or_b32 exec_lo, exec_lo, s5
	s_wait_dscnt 0x1
	ds_bpermute_b32 v10, v19, v21
	ds_bpermute_b32 v0, v19, v0
	ds_bpermute_b32 v1, v19, v1
	s_mov_b32 s18, exec_lo
	s_wait_dscnt 0x2
	v_cmpx_ne_u32_e32 0, v10
	s_cbranch_execz .LBB17_49
; %bb.48:                               ;   in Loop: Header=BB17_3 Depth=1
	s_wait_dscnt 0x0
	v_cmp_gt_f64_e64 s3, v[8:9], v[0:1]
	v_cmp_eq_f64_e64 s5, v[8:9], v[0:1]
	v_cmp_eq_u32_e64 s4, 0, v21
	s_or_b32 s3, s4, s3
	s_delay_alu instid0(SALU_CYCLE_1) | instskip(SKIP_1) | instid1(VALU_DEP_2)
	v_dual_cndmask_b32 v8, v8, v0, s3 :: v_dual_min_i32 v11, v10, v21
	v_cndmask_b32_e64 v9, v9, v1, s3
	v_cndmask_b32_e64 v11, v21, v11, s5
	s_delay_alu instid0(VALU_DEP_1)
	v_cndmask_b32_e64 v21, v11, v10, s3
.LBB17_49:                              ;   in Loop: Header=BB17_3 Depth=1
	s_or_b32 exec_lo, exec_lo, s18
	s_wait_dscnt 0x0
	v_mov_b64_e32 v[0:1], v[8:9]
	s_or_b32 exec_lo, exec_lo, s17
	s_and_saveexec_b32 s3, s2
	s_cbranch_execz .LBB17_2
.LBB17_50:                              ;   in Loop: Header=BB17_3 Depth=1
	s_lshl_b64 s[4:5], s[6:7], 4
	s_delay_alu instid0(SALU_CYCLE_1)
	s_add_nc_u64 s[4:5], s[12:13], s[4:5]
	s_wait_dscnt 0x1
	global_store_b32 v3, v21, s[4:5]
	s_wait_dscnt 0x0
	global_store_b64 v3, v[0:1], s[4:5] offset:8
	s_branch .LBB17_2
.LBB17_51:
	s_endpgm
	.section	.rodata,"a",@progbits
	.p2align	6, 0x0
	.amdhsa_kernel _ZL32rocblas_iamax_iamin_kernel_part1ILi1024E23rocblas_fetch_amax_aminIdE19rocblas_reduce_aminPKPKd21rocblas_index_value_tIdEEviiT2_liliPT3_
		.amdhsa_group_segment_fixed_size 512
		.amdhsa_private_segment_fixed_size 0
		.amdhsa_kernarg_size 56
		.amdhsa_user_sgpr_count 2
		.amdhsa_user_sgpr_dispatch_ptr 0
		.amdhsa_user_sgpr_queue_ptr 0
		.amdhsa_user_sgpr_kernarg_segment_ptr 1
		.amdhsa_user_sgpr_dispatch_id 0
		.amdhsa_user_sgpr_kernarg_preload_length 0
		.amdhsa_user_sgpr_kernarg_preload_offset 0
		.amdhsa_user_sgpr_private_segment_size 0
		.amdhsa_wavefront_size32 1
		.amdhsa_uses_dynamic_stack 0
		.amdhsa_enable_private_segment 0
		.amdhsa_system_sgpr_workgroup_id_x 1
		.amdhsa_system_sgpr_workgroup_id_y 0
		.amdhsa_system_sgpr_workgroup_id_z 1
		.amdhsa_system_sgpr_workgroup_info 0
		.amdhsa_system_vgpr_workitem_id 0
		.amdhsa_next_free_vgpr 23
		.amdhsa_next_free_sgpr 19
		.amdhsa_named_barrier_count 0
		.amdhsa_reserve_vcc 1
		.amdhsa_float_round_mode_32 0
		.amdhsa_float_round_mode_16_64 0
		.amdhsa_float_denorm_mode_32 3
		.amdhsa_float_denorm_mode_16_64 3
		.amdhsa_fp16_overflow 0
		.amdhsa_memory_ordered 1
		.amdhsa_forward_progress 1
		.amdhsa_inst_pref_size 18
		.amdhsa_round_robin_scheduling 0
		.amdhsa_exception_fp_ieee_invalid_op 0
		.amdhsa_exception_fp_denorm_src 0
		.amdhsa_exception_fp_ieee_div_zero 0
		.amdhsa_exception_fp_ieee_overflow 0
		.amdhsa_exception_fp_ieee_underflow 0
		.amdhsa_exception_fp_ieee_inexact 0
		.amdhsa_exception_int_div_zero 0
	.end_amdhsa_kernel
	.section	.text._ZL32rocblas_iamax_iamin_kernel_part1ILi1024E23rocblas_fetch_amax_aminIdE19rocblas_reduce_aminPKPKd21rocblas_index_value_tIdEEviiT2_liliPT3_,"axG",@progbits,_ZL32rocblas_iamax_iamin_kernel_part1ILi1024E23rocblas_fetch_amax_aminIdE19rocblas_reduce_aminPKPKd21rocblas_index_value_tIdEEviiT2_liliPT3_,comdat
.Lfunc_end17:
	.size	_ZL32rocblas_iamax_iamin_kernel_part1ILi1024E23rocblas_fetch_amax_aminIdE19rocblas_reduce_aminPKPKd21rocblas_index_value_tIdEEviiT2_liliPT3_, .Lfunc_end17-_ZL32rocblas_iamax_iamin_kernel_part1ILi1024E23rocblas_fetch_amax_aminIdE19rocblas_reduce_aminPKPKd21rocblas_index_value_tIdEEviiT2_liliPT3_
                                        ; -- End function
	.set _ZL32rocblas_iamax_iamin_kernel_part1ILi1024E23rocblas_fetch_amax_aminIdE19rocblas_reduce_aminPKPKd21rocblas_index_value_tIdEEviiT2_liliPT3_.num_vgpr, 23
	.set _ZL32rocblas_iamax_iamin_kernel_part1ILi1024E23rocblas_fetch_amax_aminIdE19rocblas_reduce_aminPKPKd21rocblas_index_value_tIdEEviiT2_liliPT3_.num_agpr, 0
	.set _ZL32rocblas_iamax_iamin_kernel_part1ILi1024E23rocblas_fetch_amax_aminIdE19rocblas_reduce_aminPKPKd21rocblas_index_value_tIdEEviiT2_liliPT3_.numbered_sgpr, 19
	.set _ZL32rocblas_iamax_iamin_kernel_part1ILi1024E23rocblas_fetch_amax_aminIdE19rocblas_reduce_aminPKPKd21rocblas_index_value_tIdEEviiT2_liliPT3_.num_named_barrier, 0
	.set _ZL32rocblas_iamax_iamin_kernel_part1ILi1024E23rocblas_fetch_amax_aminIdE19rocblas_reduce_aminPKPKd21rocblas_index_value_tIdEEviiT2_liliPT3_.private_seg_size, 0
	.set _ZL32rocblas_iamax_iamin_kernel_part1ILi1024E23rocblas_fetch_amax_aminIdE19rocblas_reduce_aminPKPKd21rocblas_index_value_tIdEEviiT2_liliPT3_.uses_vcc, 1
	.set _ZL32rocblas_iamax_iamin_kernel_part1ILi1024E23rocblas_fetch_amax_aminIdE19rocblas_reduce_aminPKPKd21rocblas_index_value_tIdEEviiT2_liliPT3_.uses_flat_scratch, 0
	.set _ZL32rocblas_iamax_iamin_kernel_part1ILi1024E23rocblas_fetch_amax_aminIdE19rocblas_reduce_aminPKPKd21rocblas_index_value_tIdEEviiT2_liliPT3_.has_dyn_sized_stack, 0
	.set _ZL32rocblas_iamax_iamin_kernel_part1ILi1024E23rocblas_fetch_amax_aminIdE19rocblas_reduce_aminPKPKd21rocblas_index_value_tIdEEviiT2_liliPT3_.has_recursion, 0
	.set _ZL32rocblas_iamax_iamin_kernel_part1ILi1024E23rocblas_fetch_amax_aminIdE19rocblas_reduce_aminPKPKd21rocblas_index_value_tIdEEviiT2_liliPT3_.has_indirect_call, 0
	.section	.AMDGPU.csdata,"",@progbits
; Kernel info:
; codeLenInByte = 2232
; TotalNumSgprs: 21
; NumVgprs: 23
; ScratchSize: 0
; MemoryBound: 0
; FloatMode: 240
; IeeeMode: 1
; LDSByteSize: 512 bytes/workgroup (compile time only)
; SGPRBlocks: 0
; VGPRBlocks: 1
; NumSGPRsForWavesPerEU: 21
; NumVGPRsForWavesPerEU: 23
; NamedBarCnt: 0
; Occupancy: 16
; WaveLimiterHint : 1
; COMPUTE_PGM_RSRC2:SCRATCH_EN: 0
; COMPUTE_PGM_RSRC2:USER_SGPR: 2
; COMPUTE_PGM_RSRC2:TRAP_HANDLER: 0
; COMPUTE_PGM_RSRC2:TGID_X_EN: 1
; COMPUTE_PGM_RSRC2:TGID_Y_EN: 0
; COMPUTE_PGM_RSRC2:TGID_Z_EN: 1
; COMPUTE_PGM_RSRC2:TIDIG_COMP_CNT: 0
	.section	.text._ZL32rocblas_iamax_iamin_kernel_part1ILi1024E23rocblas_fetch_amax_aminIfE19rocblas_reduce_aminPKPK19rocblas_complex_numIfE21rocblas_index_value_tIfEEviiT2_liliPT3_,"axG",@progbits,_ZL32rocblas_iamax_iamin_kernel_part1ILi1024E23rocblas_fetch_amax_aminIfE19rocblas_reduce_aminPKPK19rocblas_complex_numIfE21rocblas_index_value_tIfEEviiT2_liliPT3_,comdat
	.globl	_ZL32rocblas_iamax_iamin_kernel_part1ILi1024E23rocblas_fetch_amax_aminIfE19rocblas_reduce_aminPKPK19rocblas_complex_numIfE21rocblas_index_value_tIfEEviiT2_liliPT3_ ; -- Begin function _ZL32rocblas_iamax_iamin_kernel_part1ILi1024E23rocblas_fetch_amax_aminIfE19rocblas_reduce_aminPKPK19rocblas_complex_numIfE21rocblas_index_value_tIfEEviiT2_liliPT3_
	.p2align	8
	.type	_ZL32rocblas_iamax_iamin_kernel_part1ILi1024E23rocblas_fetch_amax_aminIfE19rocblas_reduce_aminPKPK19rocblas_complex_numIfE21rocblas_index_value_tIfEEviiT2_liliPT3_,@function
_ZL32rocblas_iamax_iamin_kernel_part1ILi1024E23rocblas_fetch_amax_aminIfE19rocblas_reduce_aminPKPK19rocblas_complex_numIfE21rocblas_index_value_tIfEEviiT2_liliPT3_: ; @_ZL32rocblas_iamax_iamin_kernel_part1ILi1024E23rocblas_fetch_amax_aminIfE19rocblas_reduce_aminPKPK19rocblas_complex_numIfE21rocblas_index_value_tIfEEviiT2_liliPT3_
; %bb.0:
	s_load_b32 s12, s[0:1], 0x28
	s_bfe_u32 s2, ttmp6, 0x40014
	s_lshr_b32 s3, ttmp7, 16
	s_add_co_i32 s2, s2, 1
	s_bfe_u32 s5, ttmp6, 0x40008
	s_mul_i32 s4, s3, s2
	s_getreg_b32 s2, hwreg(HW_REG_IB_STS2, 6, 4)
	s_add_co_i32 s5, s5, s4
	s_cmp_eq_u32 s2, 0
	s_cselect_b32 s13, s3, s5
	s_wait_kmcnt 0x0
	s_cmp_ge_u32 s13, s12
	s_cbranch_scc1 .LBB18_47
; %bb.1:
	s_clause 0x1
	s_load_b32 s4, s[0:1], 0x18
	s_load_b64 s[14:15], s[0:1], 0x0
	s_bfe_u32 s3, ttmp6, 0x4000c
	s_and_b32 s5, ttmp6, 15
	s_add_co_i32 s3, s3, 1
	v_dual_mov_b32 v5, 0 :: v_dual_bitop2_b32 v1, 31, v0 bitop3:0x40
	s_mul_i32 s3, ttmp9, s3
	v_mbcnt_lo_u32_b32 v11, -1, 0
	s_add_co_i32 s3, s5, s3
	s_clause 0x1
	s_load_b64 s[6:7], s[0:1], 0x30
	s_load_b128 s[8:11], s[0:1], 0x8
	v_lshlrev_b32_e32 v7, 3, v1
	v_lshl_or_b32 v8, v11, 2, 64
	s_wait_kmcnt 0x0
	s_ashr_i32 s5, s4, 31
	s_cmp_eq_u32 s2, 0
	s_mov_b32 s0, s14
	s_cselect_b32 s3, ttmp9, s3
	s_ashr_i32 s1, s14, 31
	v_lshl_or_b32 v4, s3, 10, v0
	v_cmp_eq_u32_e64 s2, 0, v0
	s_delay_alu instid0(VALU_DEP_2)
	v_mul_u64_e32 v[2:3], s[4:5], v[4:5]
	v_cmp_gt_i64_e32 vcc_lo, s[0:1], v[4:5]
	v_cmp_gt_u32_e64 s1, 24, v11
	v_add_nc_u32_e32 v6, 1, v4
	v_cmp_gt_u32_e64 s0, 32, v0
	s_mul_i32 s4, s13, s15
	s_lshl_b32 s15, s15, 16
	v_cndmask_b32_e64 v4, 0, 8, s1
	v_cmp_gt_u32_e64 s1, 28, v11
	s_add_co_i32 s14, s3, s4
	s_lshl_b64 s[10:11], s[10:11], 3
	v_add_lshl_u32 v9, v4, v11, 2
	v_cndmask_b32_e64 v5, 0, 4, s1
	v_cmp_gt_u32_e64 s1, 30, v11
	s_delay_alu instid0(VALU_DEP_2) | instskip(NEXT) | instid1(VALU_DEP_2)
	v_add_lshl_u32 v10, v5, v11, 2
	v_cndmask_b32_e64 v12, 0, 2, s1
	v_cmp_ne_u32_e64 s1, 31, v11
	s_delay_alu instid0(VALU_DEP_1) | instskip(SKIP_1) | instid1(VALU_DEP_4)
	v_add_co_ci_u32_e64 v13, null, 0, v11, s1
	v_lshrrev_b32_e32 v4, 2, v0
	v_add_lshl_u32 v11, v12, v11, 2
	v_cmp_eq_u32_e64 s1, 0, v1
	s_delay_alu instid0(VALU_DEP_4) | instskip(NEXT) | instid1(VALU_DEP_4)
	v_lshlrev_b32_e32 v12, 2, v13
	v_and_b32_e32 v13, 0xf8, v4
	v_mov_b64_e32 v[4:5], 0
	s_branch .LBB18_3
.LBB18_2:                               ;   in Loop: Header=BB18_3 Depth=1
	s_wait_xcnt 0x0
	s_or_b32 exec_lo, exec_lo, s3
	s_add_co_i32 s13, s13, 0x10000
	s_add_co_i32 s14, s14, s15
	s_cmp_lt_u32 s13, s12
	s_cbranch_scc0 .LBB18_47
.LBB18_3:                               ; =>This Inner Loop Header: Depth=1
	s_wait_dscnt 0x0
	v_mov_b32_e32 v0, 0
	s_and_saveexec_b32 s4, vcc_lo
	s_cbranch_execz .LBB18_5
; %bb.4:                                ;   in Loop: Header=BB18_3 Depth=1
	v_mov_b32_e32 v0, s13
	global_load_b64 v[0:1], v0, s[8:9] scale_offset
	s_wait_loadcnt 0x0
	s_wait_xcnt 0x0
	v_add_nc_u64_e32 v[0:1], s[10:11], v[0:1]
	s_delay_alu instid0(VALU_DEP_1) | instskip(SKIP_4) | instid1(VALU_DEP_1)
	v_lshl_add_u64 v[0:1], v[2:3], 3, v[0:1]
	flat_load_b64 v[0:1], v[0:1]
	s_wait_loadcnt_dscnt 0x0
	v_cmp_gt_f32_e64 s3, 0, v1
	s_wait_xcnt 0x0
	v_cndmask_b32_e64 v1, v1, -v1, s3
	v_cmp_gt_f32_e64 s3, 0, v0
	s_delay_alu instid0(VALU_DEP_1) | instskip(NEXT) | instid1(VALU_DEP_1)
	v_cndmask_b32_e64 v0, v0, -v0, s3
	v_dual_add_f32 v1, v0, v1 :: v_dual_mov_b32 v0, v6
.LBB18_5:                               ;   in Loop: Header=BB18_3 Depth=1
	s_or_b32 exec_lo, exec_lo, s4
	s_and_saveexec_b32 s3, s0
; %bb.6:                                ;   in Loop: Header=BB18_3 Depth=1
	ds_store_b64 v7, v[4:5]
; %bb.7:                                ;   in Loop: Header=BB18_3 Depth=1
	s_or_b32 exec_lo, exec_lo, s3
	ds_bpermute_b32 v14, v8, v0
	ds_bpermute_b32 v15, v8, v1
	s_mov_b32 s16, exec_lo
	s_wait_dscnt 0x0
	s_barrier_signal -1
	s_barrier_wait -1
	v_cmpx_ne_u32_e32 0, v14
; %bb.8:                                ;   in Loop: Header=BB18_3 Depth=1
	v_cmp_eq_u32_e64 s3, 0, v0
	v_cmp_gt_f32_e64 s4, v1, v15
	v_cmp_eq_f32_e64 s5, v1, v15
	s_or_b32 s3, s3, s4
	s_delay_alu instid0(SALU_CYCLE_1) | instskip(NEXT) | instid1(VALU_DEP_1)
	v_dual_cndmask_b32 v1, v1, v15, s3 :: v_dual_min_i32 v16, v14, v0
	v_cndmask_b32_e64 v0, v0, v16, s5
	s_delay_alu instid0(VALU_DEP_1)
	v_cndmask_b32_e64 v0, v0, v14, s3
; %bb.9:                                ;   in Loop: Header=BB18_3 Depth=1
	s_or_b32 exec_lo, exec_lo, s16
	ds_bpermute_b32 v15, v9, v0
	ds_bpermute_b32 v16, v9, v1
	v_mov_b32_e32 v14, v1
	s_mov_b32 s5, exec_lo
	s_wait_dscnt 0x1
	v_cmpx_ne_u32_e32 0, v15
	s_cbranch_execz .LBB18_13
; %bb.10:                               ;   in Loop: Header=BB18_3 Depth=1
	v_cmp_ne_u32_e64 s3, 0, v0
	s_wait_dscnt 0x0
	v_cmp_ngt_f32_e64 s4, v1, v16
	s_and_b32 s3, s3, s4
	s_delay_alu instid0(SALU_CYCLE_1)
	s_and_saveexec_b32 s4, s3
; %bb.11:                               ;   in Loop: Header=BB18_3 Depth=1
	v_min_i32_e32 v14, v15, v0
	v_cmp_eq_f32_e64 s3, v1, v16
	s_delay_alu instid0(VALU_DEP_1)
	v_dual_mov_b32 v16, v1 :: v_dual_cndmask_b32 v15, v0, v14, s3
; %bb.12:                               ;   in Loop: Header=BB18_3 Depth=1
	s_or_b32 exec_lo, exec_lo, s4
	s_delay_alu instid0(VALU_DEP_1)
	v_dual_mov_b32 v1, v16 :: v_dual_mov_b32 v0, v15
	v_mov_b32_e32 v14, v16
.LBB18_13:                              ;   in Loop: Header=BB18_3 Depth=1
	s_or_b32 exec_lo, exec_lo, s5
	ds_bpermute_b32 v15, v10, v0
	s_wait_dscnt 0x1
	ds_bpermute_b32 v16, v10, v1
	s_mov_b32 s5, exec_lo
	s_wait_dscnt 0x1
	v_cmpx_ne_u32_e32 0, v15
	s_cbranch_execz .LBB18_17
; %bb.14:                               ;   in Loop: Header=BB18_3 Depth=1
	v_cmp_ne_u32_e64 s3, 0, v0
	s_wait_dscnt 0x0
	v_cmp_ngt_f32_e64 s4, v14, v16
	v_mov_b32_e32 v17, v16
	s_and_b32 s3, s3, s4
	s_delay_alu instid0(SALU_CYCLE_1)
	s_and_saveexec_b32 s4, s3
; %bb.15:                               ;   in Loop: Header=BB18_3 Depth=1
	v_dual_mov_b32 v17, v14 :: v_dual_min_i32 v15, v15, v0
	v_cmp_eq_f32_e64 s3, v14, v16
	s_delay_alu instid0(VALU_DEP_1)
	v_dual_mov_b32 v16, v1 :: v_dual_cndmask_b32 v15, v0, v15, s3
; %bb.16:                               ;   in Loop: Header=BB18_3 Depth=1
	s_or_b32 exec_lo, exec_lo, s4
	s_delay_alu instid0(VALU_DEP_1)
	v_dual_mov_b32 v1, v16 :: v_dual_mov_b32 v0, v15
	v_mov_b32_e32 v14, v17
.LBB18_17:                              ;   in Loop: Header=BB18_3 Depth=1
	s_or_b32 exec_lo, exec_lo, s5
	ds_bpermute_b32 v15, v11, v0
	s_wait_dscnt 0x1
	ds_bpermute_b32 v16, v11, v1
	s_mov_b32 s5, exec_lo
	s_wait_dscnt 0x1
	v_cmpx_ne_u32_e32 0, v15
	s_cbranch_execz .LBB18_21
; %bb.18:                               ;   in Loop: Header=BB18_3 Depth=1
	v_cmp_ne_u32_e64 s3, 0, v0
	s_wait_dscnt 0x0
	v_cmp_ngt_f32_e64 s4, v14, v16
	v_mov_b32_e32 v17, v16
	s_and_b32 s3, s3, s4
	s_delay_alu instid0(SALU_CYCLE_1)
	s_and_saveexec_b32 s4, s3
; %bb.19:                               ;   in Loop: Header=BB18_3 Depth=1
	v_dual_mov_b32 v17, v14 :: v_dual_min_i32 v15, v15, v0
	v_cmp_eq_f32_e64 s3, v14, v16
	s_delay_alu instid0(VALU_DEP_1)
	v_dual_mov_b32 v16, v1 :: v_dual_cndmask_b32 v15, v0, v15, s3
; %bb.20:                               ;   in Loop: Header=BB18_3 Depth=1
	s_or_b32 exec_lo, exec_lo, s4
	s_delay_alu instid0(VALU_DEP_1)
	v_dual_mov_b32 v1, v16 :: v_dual_mov_b32 v0, v15
	v_mov_b32_e32 v14, v17
.LBB18_21:                              ;   in Loop: Header=BB18_3 Depth=1
	s_or_b32 exec_lo, exec_lo, s5
	ds_bpermute_b32 v15, v12, v0
	s_wait_dscnt 0x1
	ds_bpermute_b32 v16, v12, v1
	s_mov_b32 s16, exec_lo
	s_wait_dscnt 0x1
	v_cmpx_ne_u32_e32 0, v15
	s_cbranch_execz .LBB18_23
; %bb.22:                               ;   in Loop: Header=BB18_3 Depth=1
	v_cmp_eq_u32_e64 s3, 0, v0
	s_wait_dscnt 0x0
	v_cmp_gt_f32_e64 s4, v14, v16
	v_cmp_eq_f32_e64 s5, v14, v16
	s_or_b32 s3, s3, s4
	v_min_i32_e32 v17, v15, v0
	s_delay_alu instid0(VALU_DEP_1) | instskip(NEXT) | instid1(VALU_DEP_1)
	v_dual_cndmask_b32 v1, v1, v16, s3 :: v_dual_cndmask_b32 v0, v0, v17, s5
	v_cndmask_b32_e64 v0, v0, v15, s3
.LBB18_23:                              ;   in Loop: Header=BB18_3 Depth=1
	s_or_b32 exec_lo, exec_lo, s16
	s_and_saveexec_b32 s3, s1
; %bb.24:                               ;   in Loop: Header=BB18_3 Depth=1
	ds_store_b64 v13, v[0:1]
; %bb.25:                               ;   in Loop: Header=BB18_3 Depth=1
	s_or_b32 exec_lo, exec_lo, s3
	v_dual_mov_b32 v0, 0 :: v_dual_mov_b32 v1, 0
	s_wait_dscnt 0x0
	s_barrier_signal -1
	s_barrier_wait -1
	s_and_saveexec_b32 s3, s0
	s_cbranch_execnz .LBB18_28
; %bb.26:                               ;   in Loop: Header=BB18_3 Depth=1
	s_or_b32 exec_lo, exec_lo, s3
	s_and_saveexec_b32 s16, s0
	s_cbranch_execnz .LBB18_29
.LBB18_27:                              ;   in Loop: Header=BB18_3 Depth=1
	s_or_b32 exec_lo, exec_lo, s16
	s_and_saveexec_b32 s3, s2
	s_cbranch_execz .LBB18_2
	s_branch .LBB18_46
.LBB18_28:                              ;   in Loop: Header=BB18_3 Depth=1
	ds_load_b64 v[0:1], v7
	s_or_b32 exec_lo, exec_lo, s3
	s_and_saveexec_b32 s16, s0
	s_cbranch_execz .LBB18_27
.LBB18_29:                              ;   in Loop: Header=BB18_3 Depth=1
	s_wait_dscnt 0x0
	ds_bpermute_b32 v14, v8, v0
	ds_bpermute_b32 v15, v8, v1
	s_mov_b32 s17, exec_lo
	s_wait_dscnt 0x1
	v_cmpx_ne_u32_e32 0, v14
	s_cbranch_execz .LBB18_31
; %bb.30:                               ;   in Loop: Header=BB18_3 Depth=1
	v_cmp_eq_u32_e64 s3, 0, v0
	s_wait_dscnt 0x0
	v_cmp_gt_f32_e64 s4, v1, v15
	v_cmp_eq_f32_e64 s5, v1, v15
	s_or_b32 s3, s3, s4
	s_delay_alu instid0(SALU_CYCLE_1) | instskip(NEXT) | instid1(VALU_DEP_1)
	v_dual_cndmask_b32 v1, v1, v15, s3 :: v_dual_min_i32 v16, v14, v0
	v_cndmask_b32_e64 v0, v0, v16, s5
	s_delay_alu instid0(VALU_DEP_1)
	v_cndmask_b32_e64 v0, v0, v14, s3
.LBB18_31:                              ;   in Loop: Header=BB18_3 Depth=1
	s_or_b32 exec_lo, exec_lo, s17
	s_wait_dscnt 0x0
	ds_bpermute_b32 v15, v9, v0
	ds_bpermute_b32 v16, v9, v1
	v_mov_b32_e32 v14, v1
	s_mov_b32 s5, exec_lo
	s_wait_dscnt 0x1
	v_cmpx_ne_u32_e32 0, v15
	s_cbranch_execz .LBB18_35
; %bb.32:                               ;   in Loop: Header=BB18_3 Depth=1
	v_cmp_ne_u32_e64 s3, 0, v0
	s_wait_dscnt 0x0
	v_cmp_ngt_f32_e64 s4, v1, v16
	s_and_b32 s3, s3, s4
	s_delay_alu instid0(SALU_CYCLE_1)
	s_and_saveexec_b32 s4, s3
; %bb.33:                               ;   in Loop: Header=BB18_3 Depth=1
	v_min_i32_e32 v14, v15, v0
	v_cmp_eq_f32_e64 s3, v1, v16
	s_delay_alu instid0(VALU_DEP_1)
	v_dual_mov_b32 v16, v1 :: v_dual_cndmask_b32 v15, v0, v14, s3
; %bb.34:                               ;   in Loop: Header=BB18_3 Depth=1
	s_or_b32 exec_lo, exec_lo, s4
	s_delay_alu instid0(VALU_DEP_1)
	v_dual_mov_b32 v1, v16 :: v_dual_mov_b32 v0, v15
	v_mov_b32_e32 v14, v16
.LBB18_35:                              ;   in Loop: Header=BB18_3 Depth=1
	s_or_b32 exec_lo, exec_lo, s5
	ds_bpermute_b32 v15, v10, v0
	s_wait_dscnt 0x1
	ds_bpermute_b32 v16, v10, v1
	s_mov_b32 s5, exec_lo
	s_wait_dscnt 0x1
	v_cmpx_ne_u32_e32 0, v15
	s_cbranch_execz .LBB18_39
; %bb.36:                               ;   in Loop: Header=BB18_3 Depth=1
	v_cmp_ne_u32_e64 s3, 0, v0
	s_wait_dscnt 0x0
	v_cmp_ngt_f32_e64 s4, v14, v16
	v_mov_b32_e32 v17, v16
	s_and_b32 s3, s3, s4
	s_delay_alu instid0(SALU_CYCLE_1)
	s_and_saveexec_b32 s4, s3
; %bb.37:                               ;   in Loop: Header=BB18_3 Depth=1
	v_dual_mov_b32 v17, v14 :: v_dual_min_i32 v15, v15, v0
	v_cmp_eq_f32_e64 s3, v14, v16
	s_delay_alu instid0(VALU_DEP_1)
	v_dual_mov_b32 v16, v1 :: v_dual_cndmask_b32 v15, v0, v15, s3
; %bb.38:                               ;   in Loop: Header=BB18_3 Depth=1
	s_or_b32 exec_lo, exec_lo, s4
	s_delay_alu instid0(VALU_DEP_1)
	v_dual_mov_b32 v1, v16 :: v_dual_mov_b32 v0, v15
	v_mov_b32_e32 v14, v17
.LBB18_39:                              ;   in Loop: Header=BB18_3 Depth=1
	s_or_b32 exec_lo, exec_lo, s5
	ds_bpermute_b32 v15, v11, v0
	s_wait_dscnt 0x1
	ds_bpermute_b32 v16, v11, v1
	s_mov_b32 s5, exec_lo
	s_wait_dscnt 0x1
	v_cmpx_ne_u32_e32 0, v15
	s_cbranch_execz .LBB18_43
; %bb.40:                               ;   in Loop: Header=BB18_3 Depth=1
	v_cmp_ne_u32_e64 s3, 0, v0
	s_wait_dscnt 0x0
	v_cmp_ngt_f32_e64 s4, v14, v16
	v_mov_b32_e32 v17, v16
	s_and_b32 s3, s3, s4
	s_delay_alu instid0(SALU_CYCLE_1)
	s_and_saveexec_b32 s4, s3
; %bb.41:                               ;   in Loop: Header=BB18_3 Depth=1
	v_dual_mov_b32 v17, v14 :: v_dual_min_i32 v15, v15, v0
	v_cmp_eq_f32_e64 s3, v14, v16
	s_delay_alu instid0(VALU_DEP_1)
	v_dual_mov_b32 v16, v1 :: v_dual_cndmask_b32 v15, v0, v15, s3
; %bb.42:                               ;   in Loop: Header=BB18_3 Depth=1
	s_or_b32 exec_lo, exec_lo, s4
	s_delay_alu instid0(VALU_DEP_1)
	v_dual_mov_b32 v1, v16 :: v_dual_mov_b32 v0, v15
	v_mov_b32_e32 v14, v17
.LBB18_43:                              ;   in Loop: Header=BB18_3 Depth=1
	s_or_b32 exec_lo, exec_lo, s5
	ds_bpermute_b32 v15, v12, v0
	s_wait_dscnt 0x1
	ds_bpermute_b32 v16, v12, v1
	s_mov_b32 s17, exec_lo
	s_wait_dscnt 0x1
	v_cmpx_ne_u32_e32 0, v15
	s_cbranch_execz .LBB18_45
; %bb.44:                               ;   in Loop: Header=BB18_3 Depth=1
	v_cmp_eq_u32_e64 s3, 0, v0
	s_wait_dscnt 0x0
	v_cmp_gt_f32_e64 s4, v14, v16
	v_cmp_eq_f32_e64 s5, v14, v16
	s_or_b32 s3, s3, s4
	v_min_i32_e32 v17, v15, v0
	s_delay_alu instid0(VALU_DEP_1) | instskip(NEXT) | instid1(VALU_DEP_1)
	v_dual_cndmask_b32 v1, v1, v16, s3 :: v_dual_cndmask_b32 v0, v0, v17, s5
	v_cndmask_b32_e64 v0, v0, v15, s3
.LBB18_45:                              ;   in Loop: Header=BB18_3 Depth=1
	s_or_b32 exec_lo, exec_lo, s17
	s_delay_alu instid0(SALU_CYCLE_1)
	s_or_b32 exec_lo, exec_lo, s16
	s_and_saveexec_b32 s3, s2
	s_cbranch_execz .LBB18_2
.LBB18_46:                              ;   in Loop: Header=BB18_3 Depth=1
	v_mov_b32_e32 v14, s14
	s_wait_dscnt 0x0
	global_store_b64 v14, v[0:1], s[6:7] scale_offset
	s_branch .LBB18_2
.LBB18_47:
	s_endpgm
	.section	.rodata,"a",@progbits
	.p2align	6, 0x0
	.amdhsa_kernel _ZL32rocblas_iamax_iamin_kernel_part1ILi1024E23rocblas_fetch_amax_aminIfE19rocblas_reduce_aminPKPK19rocblas_complex_numIfE21rocblas_index_value_tIfEEviiT2_liliPT3_
		.amdhsa_group_segment_fixed_size 256
		.amdhsa_private_segment_fixed_size 0
		.amdhsa_kernarg_size 56
		.amdhsa_user_sgpr_count 2
		.amdhsa_user_sgpr_dispatch_ptr 0
		.amdhsa_user_sgpr_queue_ptr 0
		.amdhsa_user_sgpr_kernarg_segment_ptr 1
		.amdhsa_user_sgpr_dispatch_id 0
		.amdhsa_user_sgpr_kernarg_preload_length 0
		.amdhsa_user_sgpr_kernarg_preload_offset 0
		.amdhsa_user_sgpr_private_segment_size 0
		.amdhsa_wavefront_size32 1
		.amdhsa_uses_dynamic_stack 0
		.amdhsa_enable_private_segment 0
		.amdhsa_system_sgpr_workgroup_id_x 1
		.amdhsa_system_sgpr_workgroup_id_y 0
		.amdhsa_system_sgpr_workgroup_id_z 1
		.amdhsa_system_sgpr_workgroup_info 0
		.amdhsa_system_vgpr_workitem_id 0
		.amdhsa_next_free_vgpr 18
		.amdhsa_next_free_sgpr 18
		.amdhsa_named_barrier_count 0
		.amdhsa_reserve_vcc 1
		.amdhsa_float_round_mode_32 0
		.amdhsa_float_round_mode_16_64 0
		.amdhsa_float_denorm_mode_32 3
		.amdhsa_float_denorm_mode_16_64 3
		.amdhsa_fp16_overflow 0
		.amdhsa_memory_ordered 1
		.amdhsa_forward_progress 1
		.amdhsa_inst_pref_size 15
		.amdhsa_round_robin_scheduling 0
		.amdhsa_exception_fp_ieee_invalid_op 0
		.amdhsa_exception_fp_denorm_src 0
		.amdhsa_exception_fp_ieee_div_zero 0
		.amdhsa_exception_fp_ieee_overflow 0
		.amdhsa_exception_fp_ieee_underflow 0
		.amdhsa_exception_fp_ieee_inexact 0
		.amdhsa_exception_int_div_zero 0
	.end_amdhsa_kernel
	.section	.text._ZL32rocblas_iamax_iamin_kernel_part1ILi1024E23rocblas_fetch_amax_aminIfE19rocblas_reduce_aminPKPK19rocblas_complex_numIfE21rocblas_index_value_tIfEEviiT2_liliPT3_,"axG",@progbits,_ZL32rocblas_iamax_iamin_kernel_part1ILi1024E23rocblas_fetch_amax_aminIfE19rocblas_reduce_aminPKPK19rocblas_complex_numIfE21rocblas_index_value_tIfEEviiT2_liliPT3_,comdat
.Lfunc_end18:
	.size	_ZL32rocblas_iamax_iamin_kernel_part1ILi1024E23rocblas_fetch_amax_aminIfE19rocblas_reduce_aminPKPK19rocblas_complex_numIfE21rocblas_index_value_tIfEEviiT2_liliPT3_, .Lfunc_end18-_ZL32rocblas_iamax_iamin_kernel_part1ILi1024E23rocblas_fetch_amax_aminIfE19rocblas_reduce_aminPKPK19rocblas_complex_numIfE21rocblas_index_value_tIfEEviiT2_liliPT3_
                                        ; -- End function
	.set _ZL32rocblas_iamax_iamin_kernel_part1ILi1024E23rocblas_fetch_amax_aminIfE19rocblas_reduce_aminPKPK19rocblas_complex_numIfE21rocblas_index_value_tIfEEviiT2_liliPT3_.num_vgpr, 18
	.set _ZL32rocblas_iamax_iamin_kernel_part1ILi1024E23rocblas_fetch_amax_aminIfE19rocblas_reduce_aminPKPK19rocblas_complex_numIfE21rocblas_index_value_tIfEEviiT2_liliPT3_.num_agpr, 0
	.set _ZL32rocblas_iamax_iamin_kernel_part1ILi1024E23rocblas_fetch_amax_aminIfE19rocblas_reduce_aminPKPK19rocblas_complex_numIfE21rocblas_index_value_tIfEEviiT2_liliPT3_.numbered_sgpr, 18
	.set _ZL32rocblas_iamax_iamin_kernel_part1ILi1024E23rocblas_fetch_amax_aminIfE19rocblas_reduce_aminPKPK19rocblas_complex_numIfE21rocblas_index_value_tIfEEviiT2_liliPT3_.num_named_barrier, 0
	.set _ZL32rocblas_iamax_iamin_kernel_part1ILi1024E23rocblas_fetch_amax_aminIfE19rocblas_reduce_aminPKPK19rocblas_complex_numIfE21rocblas_index_value_tIfEEviiT2_liliPT3_.private_seg_size, 0
	.set _ZL32rocblas_iamax_iamin_kernel_part1ILi1024E23rocblas_fetch_amax_aminIfE19rocblas_reduce_aminPKPK19rocblas_complex_numIfE21rocblas_index_value_tIfEEviiT2_liliPT3_.uses_vcc, 1
	.set _ZL32rocblas_iamax_iamin_kernel_part1ILi1024E23rocblas_fetch_amax_aminIfE19rocblas_reduce_aminPKPK19rocblas_complex_numIfE21rocblas_index_value_tIfEEviiT2_liliPT3_.uses_flat_scratch, 0
	.set _ZL32rocblas_iamax_iamin_kernel_part1ILi1024E23rocblas_fetch_amax_aminIfE19rocblas_reduce_aminPKPK19rocblas_complex_numIfE21rocblas_index_value_tIfEEviiT2_liliPT3_.has_dyn_sized_stack, 0
	.set _ZL32rocblas_iamax_iamin_kernel_part1ILi1024E23rocblas_fetch_amax_aminIfE19rocblas_reduce_aminPKPK19rocblas_complex_numIfE21rocblas_index_value_tIfEEviiT2_liliPT3_.has_recursion, 0
	.set _ZL32rocblas_iamax_iamin_kernel_part1ILi1024E23rocblas_fetch_amax_aminIfE19rocblas_reduce_aminPKPK19rocblas_complex_numIfE21rocblas_index_value_tIfEEviiT2_liliPT3_.has_indirect_call, 0
	.section	.AMDGPU.csdata,"",@progbits
; Kernel info:
; codeLenInByte = 1860
; TotalNumSgprs: 20
; NumVgprs: 18
; ScratchSize: 0
; MemoryBound: 0
; FloatMode: 240
; IeeeMode: 1
; LDSByteSize: 256 bytes/workgroup (compile time only)
; SGPRBlocks: 0
; VGPRBlocks: 1
; NumSGPRsForWavesPerEU: 20
; NumVGPRsForWavesPerEU: 18
; NamedBarCnt: 0
; Occupancy: 16
; WaveLimiterHint : 1
; COMPUTE_PGM_RSRC2:SCRATCH_EN: 0
; COMPUTE_PGM_RSRC2:USER_SGPR: 2
; COMPUTE_PGM_RSRC2:TRAP_HANDLER: 0
; COMPUTE_PGM_RSRC2:TGID_X_EN: 1
; COMPUTE_PGM_RSRC2:TGID_Y_EN: 0
; COMPUTE_PGM_RSRC2:TGID_Z_EN: 1
; COMPUTE_PGM_RSRC2:TIDIG_COMP_CNT: 0
	.section	.text._ZL32rocblas_iamax_iamin_kernel_part1ILi1024E23rocblas_fetch_amax_aminIdE19rocblas_reduce_aminPKPK19rocblas_complex_numIdE21rocblas_index_value_tIdEEviiT2_liliPT3_,"axG",@progbits,_ZL32rocblas_iamax_iamin_kernel_part1ILi1024E23rocblas_fetch_amax_aminIdE19rocblas_reduce_aminPKPK19rocblas_complex_numIdE21rocblas_index_value_tIdEEviiT2_liliPT3_,comdat
	.globl	_ZL32rocblas_iamax_iamin_kernel_part1ILi1024E23rocblas_fetch_amax_aminIdE19rocblas_reduce_aminPKPK19rocblas_complex_numIdE21rocblas_index_value_tIdEEviiT2_liliPT3_ ; -- Begin function _ZL32rocblas_iamax_iamin_kernel_part1ILi1024E23rocblas_fetch_amax_aminIdE19rocblas_reduce_aminPKPK19rocblas_complex_numIdE21rocblas_index_value_tIdEEviiT2_liliPT3_
	.p2align	8
	.type	_ZL32rocblas_iamax_iamin_kernel_part1ILi1024E23rocblas_fetch_amax_aminIdE19rocblas_reduce_aminPKPK19rocblas_complex_numIdE21rocblas_index_value_tIdEEviiT2_liliPT3_,@function
_ZL32rocblas_iamax_iamin_kernel_part1ILi1024E23rocblas_fetch_amax_aminIdE19rocblas_reduce_aminPKPK19rocblas_complex_numIdE21rocblas_index_value_tIdEEviiT2_liliPT3_: ; @_ZL32rocblas_iamax_iamin_kernel_part1ILi1024E23rocblas_fetch_amax_aminIdE19rocblas_reduce_aminPKPK19rocblas_complex_numIdE21rocblas_index_value_tIdEEviiT2_liliPT3_
; %bb.0:
	s_load_b32 s14, s[0:1], 0x28
	s_bfe_u32 s2, ttmp6, 0x40014
	s_lshr_b32 s3, ttmp7, 16
	s_add_co_i32 s2, s2, 1
	s_bfe_u32 s5, ttmp6, 0x40008
	s_mul_i32 s4, s3, s2
	s_getreg_b32 s2, hwreg(HW_REG_IB_STS2, 6, 4)
	s_add_co_i32 s5, s5, s4
	s_cmp_eq_u32 s2, 0
	s_mov_b32 s7, 0
	s_cselect_b32 s15, s3, s5
	s_wait_kmcnt 0x0
	s_cmp_ge_u32 s15, s14
	s_cbranch_scc1 .LBB19_51
; %bb.1:
	s_clause 0x1
	s_load_b32 s4, s[0:1], 0x18
	s_load_b64 s[16:17], s[0:1], 0x0
	s_bfe_u32 s3, ttmp6, 0x4000c
	s_and_b32 s5, ttmp6, 15
	s_add_co_i32 s3, s3, 1
	v_dual_mov_b32 v3, 0 :: v_dual_bitop2_b32 v1, 31, v0 bitop3:0x40
	s_mul_i32 s3, ttmp9, s3
	v_mbcnt_lo_u32_b32 v6, -1, 0
	s_add_co_i32 s3, s5, s3
	s_clause 0x1
	s_load_b64 s[12:13], s[0:1], 0x30
	s_load_b128 s[8:11], s[0:1], 0x8
	v_lshlrev_b32_e32 v14, 4, v1
	v_lshl_or_b32 v15, v6, 2, 64
	s_wait_kmcnt 0x0
	s_ashr_i32 s5, s4, 31
	s_cmp_eq_u32 s2, 0
	s_mov_b32 s0, s16
	s_cselect_b32 s3, ttmp9, s3
	s_ashr_i32 s1, s16, 31
	v_lshl_or_b32 v2, s3, 10, v0
	v_cmp_eq_u32_e64 s2, 0, v0
	s_lshl_b32 s16, s17, 16
	v_mul_u64_e32 v[4:5], s[4:5], v[2:3]
	v_cmp_gt_i64_e32 vcc_lo, s[0:1], v[2:3]
	v_cmp_gt_u32_e64 s1, 24, v6
	v_add_nc_u32_e32 v2, 1, v2
	v_cmp_gt_u32_e64 s0, 32, v0
	s_mul_i32 s4, s15, s17
	s_lshl_b64 s[10:11], s[10:11], 4
	v_cndmask_b32_e64 v7, 0, 8, s1
	v_cmp_gt_u32_e64 s1, 28, v6
	s_add_co_i32 s6, s3, s4
	v_add_lshl_u32 v16, v7, v6, 2
	v_cndmask_b32_e64 v8, 0, 4, s1
	v_cmp_gt_u32_e64 s1, 30, v6
	s_delay_alu instid0(VALU_DEP_2) | instskip(NEXT) | instid1(VALU_DEP_2)
	v_add_lshl_u32 v17, v8, v6, 2
	v_cndmask_b32_e64 v9, 0, 2, s1
	v_cmp_ne_u32_e64 s1, 31, v6
	s_delay_alu instid0(VALU_DEP_2) | instskip(NEXT) | instid1(VALU_DEP_2)
	v_add_lshl_u32 v18, v9, v6, 2
	v_add_co_ci_u32_e64 v10, null, 0, v6, s1
	v_lshrrev_b32_e32 v7, 1, v0
	v_cmp_eq_u32_e64 s1, 0, v1
	s_delay_alu instid0(VALU_DEP_3) | instskip(NEXT) | instid1(VALU_DEP_3)
	v_lshlrev_b32_e32 v19, 2, v10
	v_and_b32_e32 v20, 0x1f0, v7
	v_mov_b64_e32 v[6:7], 0
	s_branch .LBB19_3
.LBB19_2:                               ;   in Loop: Header=BB19_3 Depth=1
	s_wait_xcnt 0x0
	s_or_b32 exec_lo, exec_lo, s3
	s_add_co_i32 s15, s15, 0x10000
	s_add_co_i32 s6, s6, s16
	s_cmp_lt_u32 s15, s14
	s_cbranch_scc0 .LBB19_51
.LBB19_3:                               ; =>This Inner Loop Header: Depth=1
	s_wait_dscnt 0x1
	v_mov_b32_e32 v21, 0
                                        ; implicit-def: $vgpr0_vgpr1
	s_and_saveexec_b32 s4, vcc_lo
	s_cbranch_execz .LBB19_5
; %bb.4:                                ;   in Loop: Header=BB19_3 Depth=1
	s_wait_dscnt 0x0
	v_dual_mov_b32 v0, s15 :: v_dual_mov_b32 v21, v2
	global_load_b64 v[0:1], v0, s[8:9] scale_offset
	s_wait_loadcnt 0x0
	s_wait_xcnt 0x0
	v_add_nc_u64_e32 v[0:1], s[10:11], v[0:1]
	s_delay_alu instid0(VALU_DEP_1)
	v_lshl_add_u64 v[0:1], v[4:5], 4, v[0:1]
	flat_load_b128 v[8:11], v[0:1]
	s_wait_loadcnt_dscnt 0x0
	v_cmp_gt_f64_e64 s3, 0, v[8:9]
	s_wait_xcnt 0x0
	v_xor_b32_e32 v0, 0x80000000, v9
	v_xor_b32_e32 v1, 0x80000000, v11
	s_delay_alu instid0(VALU_DEP_2) | instskip(SKIP_1) | instid1(VALU_DEP_1)
	v_cndmask_b32_e64 v9, v9, v0, s3
	v_cmp_gt_f64_e64 s3, 0, v[10:11]
	v_cndmask_b32_e64 v11, v11, v1, s3
	s_delay_alu instid0(VALU_DEP_1)
	v_add_f64_e32 v[0:1], v[8:9], v[10:11]
.LBB19_5:                               ;   in Loop: Header=BB19_3 Depth=1
	s_or_b32 exec_lo, exec_lo, s4
	s_and_saveexec_b32 s3, s0
	s_cbranch_execz .LBB19_7
; %bb.6:                                ;   in Loop: Header=BB19_3 Depth=1
	ds_store_b32 v14, v3
	ds_store_b64 v14, v[6:7] offset:8
.LBB19_7:                               ;   in Loop: Header=BB19_3 Depth=1
	s_or_b32 exec_lo, exec_lo, s3
	ds_bpermute_b32 v12, v15, v21
	s_wait_dscnt 0x1
	ds_bpermute_b32 v10, v15, v0
	ds_bpermute_b32 v11, v15, v1
	v_mov_b64_e32 v[8:9], v[0:1]
	s_mov_b32 s5, exec_lo
	s_wait_dscnt 0x0
	s_barrier_signal -1
	s_barrier_wait -1
	v_cmpx_ne_u32_e32 0, v12
	s_cbranch_execz .LBB19_11
; %bb.8:                                ;   in Loop: Header=BB19_3 Depth=1
	v_cmp_ngt_f64_e64 s3, v[0:1], v[10:11]
	v_cmp_ne_u32_e64 s4, 0, v21
	v_mov_b64_e32 v[8:9], v[10:11]
	s_and_b32 s3, s4, s3
	s_delay_alu instid0(SALU_CYCLE_1)
	s_and_saveexec_b32 s4, s3
	s_cbranch_execz .LBB19_10
; %bb.9:                                ;   in Loop: Header=BB19_3 Depth=1
	v_cmp_eq_f64_e64 s3, v[0:1], v[10:11]
	v_dual_mov_b32 v11, v1 :: v_dual_min_i32 v12, v12, v21
	v_mov_b64_e32 v[8:9], v[0:1]
	s_delay_alu instid0(VALU_DEP_2)
	v_dual_mov_b32 v10, v0 :: v_dual_cndmask_b32 v12, v21, v12, s3
.LBB19_10:                              ;   in Loop: Header=BB19_3 Depth=1
	s_or_b32 exec_lo, exec_lo, s4
	s_delay_alu instid0(VALU_DEP_1) | instskip(NEXT) | instid1(VALU_DEP_2)
	v_dual_mov_b32 v1, v11 :: v_dual_mov_b32 v0, v10
	v_mov_b32_e32 v21, v12
.LBB19_11:                              ;   in Loop: Header=BB19_3 Depth=1
	s_or_b32 exec_lo, exec_lo, s5
	ds_bpermute_b32 v22, v16, v21
	ds_bpermute_b32 v10, v16, v0
	ds_bpermute_b32 v11, v16, v1
	s_mov_b32 s5, exec_lo
	s_wait_dscnt 0x2
	v_cmpx_ne_u32_e32 0, v22
	s_cbranch_execz .LBB19_15
; %bb.12:                               ;   in Loop: Header=BB19_3 Depth=1
	s_wait_dscnt 0x0
	v_cmp_ngt_f64_e64 s3, v[8:9], v[10:11]
	v_cmp_ne_u32_e64 s4, 0, v21
	v_mov_b64_e32 v[12:13], v[10:11]
	s_and_b32 s3, s4, s3
	s_delay_alu instid0(SALU_CYCLE_1)
	s_and_saveexec_b32 s4, s3
	s_cbranch_execz .LBB19_14
; %bb.13:                               ;   in Loop: Header=BB19_3 Depth=1
	v_cmp_eq_f64_e64 s3, v[8:9], v[10:11]
	v_dual_mov_b32 v10, v0 :: v_dual_min_i32 v22, v22, v21
	v_mov_b64_e32 v[12:13], v[8:9]
	v_mov_b32_e32 v11, v1
	s_delay_alu instid0(VALU_DEP_3)
	v_cndmask_b32_e64 v22, v21, v22, s3
.LBB19_14:                              ;   in Loop: Header=BB19_3 Depth=1
	s_or_b32 exec_lo, exec_lo, s4
	s_delay_alu instid0(VALU_DEP_1) | instskip(NEXT) | instid1(VALU_DEP_3)
	v_mov_b64_e32 v[8:9], v[12:13]
	v_dual_mov_b32 v1, v11 :: v_dual_mov_b32 v0, v10
	s_delay_alu instid0(VALU_DEP_3)
	v_mov_b32_e32 v21, v22
.LBB19_15:                              ;   in Loop: Header=BB19_3 Depth=1
	s_or_b32 exec_lo, exec_lo, s5
	ds_bpermute_b32 v22, v17, v21
	s_wait_dscnt 0x2
	ds_bpermute_b32 v10, v17, v0
	s_wait_dscnt 0x2
	ds_bpermute_b32 v11, v17, v1
	s_mov_b32 s5, exec_lo
	s_wait_dscnt 0x2
	v_cmpx_ne_u32_e32 0, v22
	s_cbranch_execz .LBB19_19
; %bb.16:                               ;   in Loop: Header=BB19_3 Depth=1
	s_wait_dscnt 0x0
	v_cmp_ngt_f64_e64 s3, v[8:9], v[10:11]
	v_cmp_ne_u32_e64 s4, 0, v21
	v_mov_b64_e32 v[12:13], v[10:11]
	s_and_b32 s3, s4, s3
	s_delay_alu instid0(SALU_CYCLE_1)
	s_and_saveexec_b32 s4, s3
	s_cbranch_execz .LBB19_18
; %bb.17:                               ;   in Loop: Header=BB19_3 Depth=1
	v_cmp_eq_f64_e64 s3, v[8:9], v[10:11]
	v_dual_mov_b32 v10, v0 :: v_dual_min_i32 v22, v22, v21
	v_mov_b64_e32 v[12:13], v[8:9]
	v_mov_b32_e32 v11, v1
	s_delay_alu instid0(VALU_DEP_3)
	v_cndmask_b32_e64 v22, v21, v22, s3
.LBB19_18:                              ;   in Loop: Header=BB19_3 Depth=1
	s_or_b32 exec_lo, exec_lo, s4
	s_delay_alu instid0(VALU_DEP_1) | instskip(NEXT) | instid1(VALU_DEP_3)
	v_mov_b64_e32 v[8:9], v[12:13]
	v_dual_mov_b32 v1, v11 :: v_dual_mov_b32 v0, v10
	s_delay_alu instid0(VALU_DEP_3)
	v_mov_b32_e32 v21, v22
.LBB19_19:                              ;   in Loop: Header=BB19_3 Depth=1
	s_or_b32 exec_lo, exec_lo, s5
	ds_bpermute_b32 v22, v18, v21
	s_wait_dscnt 0x2
	ds_bpermute_b32 v10, v18, v0
	s_wait_dscnt 0x2
	ds_bpermute_b32 v11, v18, v1
	s_mov_b32 s5, exec_lo
	s_wait_dscnt 0x2
	v_cmpx_ne_u32_e32 0, v22
	s_cbranch_execz .LBB19_23
; %bb.20:                               ;   in Loop: Header=BB19_3 Depth=1
	s_wait_dscnt 0x0
	v_cmp_ngt_f64_e64 s3, v[8:9], v[10:11]
	v_cmp_ne_u32_e64 s4, 0, v21
	v_mov_b64_e32 v[12:13], v[10:11]
	s_and_b32 s3, s4, s3
	s_delay_alu instid0(SALU_CYCLE_1)
	s_and_saveexec_b32 s4, s3
	s_cbranch_execz .LBB19_22
; %bb.21:                               ;   in Loop: Header=BB19_3 Depth=1
	v_cmp_eq_f64_e64 s3, v[8:9], v[10:11]
	v_dual_mov_b32 v10, v0 :: v_dual_min_i32 v22, v22, v21
	v_mov_b64_e32 v[12:13], v[8:9]
	v_mov_b32_e32 v11, v1
	s_delay_alu instid0(VALU_DEP_3)
	v_cndmask_b32_e64 v22, v21, v22, s3
.LBB19_22:                              ;   in Loop: Header=BB19_3 Depth=1
	s_or_b32 exec_lo, exec_lo, s4
	s_delay_alu instid0(VALU_DEP_1) | instskip(NEXT) | instid1(VALU_DEP_3)
	v_mov_b64_e32 v[8:9], v[12:13]
	v_dual_mov_b32 v1, v11 :: v_dual_mov_b32 v0, v10
	s_delay_alu instid0(VALU_DEP_3)
	v_mov_b32_e32 v21, v22
.LBB19_23:                              ;   in Loop: Header=BB19_3 Depth=1
	s_or_b32 exec_lo, exec_lo, s5
	s_wait_dscnt 0x1
	ds_bpermute_b32 v10, v19, v21
	ds_bpermute_b32 v0, v19, v0
	;; [unrolled: 1-line block ×3, first 2 shown]
	s_mov_b32 s17, exec_lo
	s_wait_dscnt 0x2
	v_cmpx_ne_u32_e32 0, v10
	s_cbranch_execz .LBB19_25
; %bb.24:                               ;   in Loop: Header=BB19_3 Depth=1
	s_wait_dscnt 0x0
	v_cmp_gt_f64_e64 s3, v[8:9], v[0:1]
	v_cmp_eq_f64_e64 s5, v[8:9], v[0:1]
	v_cmp_eq_u32_e64 s4, 0, v21
	s_or_b32 s3, s4, s3
	s_delay_alu instid0(SALU_CYCLE_1) | instskip(SKIP_1) | instid1(VALU_DEP_2)
	v_dual_cndmask_b32 v8, v8, v0, s3 :: v_dual_min_i32 v11, v10, v21
	v_cndmask_b32_e64 v9, v9, v1, s3
	v_cndmask_b32_e64 v11, v21, v11, s5
	s_delay_alu instid0(VALU_DEP_1)
	v_cndmask_b32_e64 v21, v11, v10, s3
.LBB19_25:                              ;   in Loop: Header=BB19_3 Depth=1
	s_or_b32 exec_lo, exec_lo, s17
	s_and_saveexec_b32 s3, s1
	s_cbranch_execz .LBB19_27
; %bb.26:                               ;   in Loop: Header=BB19_3 Depth=1
	ds_store_b32 v20, v21
	ds_store_b64 v20, v[8:9] offset:8
.LBB19_27:                              ;   in Loop: Header=BB19_3 Depth=1
	s_or_b32 exec_lo, exec_lo, s3
	s_wait_dscnt 0x0
	v_mov_b64_e32 v[0:1], 0
	v_mov_b32_e32 v21, 0
	s_barrier_signal -1
	s_barrier_wait -1
	s_and_saveexec_b32 s3, s0
	s_cbranch_execnz .LBB19_30
; %bb.28:                               ;   in Loop: Header=BB19_3 Depth=1
	s_or_b32 exec_lo, exec_lo, s3
	s_and_saveexec_b32 s17, s0
	s_cbranch_execnz .LBB19_31
.LBB19_29:                              ;   in Loop: Header=BB19_3 Depth=1
	s_or_b32 exec_lo, exec_lo, s17
	s_and_saveexec_b32 s3, s2
	s_cbranch_execz .LBB19_2
	s_branch .LBB19_50
.LBB19_30:                              ;   in Loop: Header=BB19_3 Depth=1
	ds_load_b32 v21, v14
	ds_load_b64 v[0:1], v14 offset:8
	s_or_b32 exec_lo, exec_lo, s3
	s_and_saveexec_b32 s17, s0
	s_cbranch_execz .LBB19_29
.LBB19_31:                              ;   in Loop: Header=BB19_3 Depth=1
	s_wait_dscnt 0x1
	ds_bpermute_b32 v12, v15, v21
	s_wait_dscnt 0x1
	ds_bpermute_b32 v10, v15, v0
	ds_bpermute_b32 v11, v15, v1
	v_mov_b64_e32 v[8:9], v[0:1]
	s_mov_b32 s5, exec_lo
	s_wait_dscnt 0x2
	v_cmpx_ne_u32_e32 0, v12
	s_cbranch_execz .LBB19_35
; %bb.32:                               ;   in Loop: Header=BB19_3 Depth=1
	s_wait_dscnt 0x0
	v_cmp_ngt_f64_e64 s3, v[0:1], v[10:11]
	v_cmp_ne_u32_e64 s4, 0, v21
	v_mov_b64_e32 v[8:9], v[10:11]
	s_and_b32 s3, s4, s3
	s_delay_alu instid0(SALU_CYCLE_1)
	s_and_saveexec_b32 s4, s3
	s_cbranch_execz .LBB19_34
; %bb.33:                               ;   in Loop: Header=BB19_3 Depth=1
	v_cmp_eq_f64_e64 s3, v[0:1], v[10:11]
	v_dual_mov_b32 v11, v1 :: v_dual_min_i32 v12, v12, v21
	v_mov_b64_e32 v[8:9], v[0:1]
	s_delay_alu instid0(VALU_DEP_2)
	v_dual_mov_b32 v10, v0 :: v_dual_cndmask_b32 v12, v21, v12, s3
.LBB19_34:                              ;   in Loop: Header=BB19_3 Depth=1
	s_or_b32 exec_lo, exec_lo, s4
	s_delay_alu instid0(VALU_DEP_1) | instskip(NEXT) | instid1(VALU_DEP_2)
	v_dual_mov_b32 v1, v11 :: v_dual_mov_b32 v0, v10
	v_mov_b32_e32 v21, v12
.LBB19_35:                              ;   in Loop: Header=BB19_3 Depth=1
	s_or_b32 exec_lo, exec_lo, s5
	ds_bpermute_b32 v22, v16, v21
	s_wait_dscnt 0x2
	ds_bpermute_b32 v10, v16, v0
	s_wait_dscnt 0x2
	ds_bpermute_b32 v11, v16, v1
	s_mov_b32 s5, exec_lo
	s_wait_dscnt 0x2
	v_cmpx_ne_u32_e32 0, v22
	s_cbranch_execz .LBB19_39
; %bb.36:                               ;   in Loop: Header=BB19_3 Depth=1
	s_wait_dscnt 0x0
	v_cmp_ngt_f64_e64 s3, v[8:9], v[10:11]
	v_cmp_ne_u32_e64 s4, 0, v21
	v_mov_b64_e32 v[12:13], v[10:11]
	s_and_b32 s3, s4, s3
	s_delay_alu instid0(SALU_CYCLE_1)
	s_and_saveexec_b32 s4, s3
	s_cbranch_execz .LBB19_38
; %bb.37:                               ;   in Loop: Header=BB19_3 Depth=1
	v_cmp_eq_f64_e64 s3, v[8:9], v[10:11]
	v_dual_mov_b32 v10, v0 :: v_dual_min_i32 v22, v22, v21
	v_mov_b64_e32 v[12:13], v[8:9]
	v_mov_b32_e32 v11, v1
	s_delay_alu instid0(VALU_DEP_3)
	v_cndmask_b32_e64 v22, v21, v22, s3
.LBB19_38:                              ;   in Loop: Header=BB19_3 Depth=1
	s_or_b32 exec_lo, exec_lo, s4
	s_delay_alu instid0(VALU_DEP_1) | instskip(NEXT) | instid1(VALU_DEP_3)
	v_mov_b64_e32 v[8:9], v[12:13]
	v_dual_mov_b32 v1, v11 :: v_dual_mov_b32 v0, v10
	s_delay_alu instid0(VALU_DEP_3)
	v_mov_b32_e32 v21, v22
.LBB19_39:                              ;   in Loop: Header=BB19_3 Depth=1
	s_or_b32 exec_lo, exec_lo, s5
	ds_bpermute_b32 v22, v17, v21
	s_wait_dscnt 0x2
	ds_bpermute_b32 v10, v17, v0
	s_wait_dscnt 0x2
	ds_bpermute_b32 v11, v17, v1
	s_mov_b32 s5, exec_lo
	s_wait_dscnt 0x2
	v_cmpx_ne_u32_e32 0, v22
	s_cbranch_execz .LBB19_43
; %bb.40:                               ;   in Loop: Header=BB19_3 Depth=1
	s_wait_dscnt 0x0
	v_cmp_ngt_f64_e64 s3, v[8:9], v[10:11]
	v_cmp_ne_u32_e64 s4, 0, v21
	v_mov_b64_e32 v[12:13], v[10:11]
	s_and_b32 s3, s4, s3
	s_delay_alu instid0(SALU_CYCLE_1)
	s_and_saveexec_b32 s4, s3
	s_cbranch_execz .LBB19_42
; %bb.41:                               ;   in Loop: Header=BB19_3 Depth=1
	v_cmp_eq_f64_e64 s3, v[8:9], v[10:11]
	v_dual_mov_b32 v10, v0 :: v_dual_min_i32 v22, v22, v21
	v_mov_b64_e32 v[12:13], v[8:9]
	v_mov_b32_e32 v11, v1
	s_delay_alu instid0(VALU_DEP_3)
	v_cndmask_b32_e64 v22, v21, v22, s3
.LBB19_42:                              ;   in Loop: Header=BB19_3 Depth=1
	s_or_b32 exec_lo, exec_lo, s4
	s_delay_alu instid0(VALU_DEP_1) | instskip(NEXT) | instid1(VALU_DEP_3)
	v_mov_b64_e32 v[8:9], v[12:13]
	v_dual_mov_b32 v1, v11 :: v_dual_mov_b32 v0, v10
	s_delay_alu instid0(VALU_DEP_3)
	v_mov_b32_e32 v21, v22
.LBB19_43:                              ;   in Loop: Header=BB19_3 Depth=1
	;; [unrolled: 34-line block ×3, first 2 shown]
	s_or_b32 exec_lo, exec_lo, s5
	s_wait_dscnt 0x1
	ds_bpermute_b32 v10, v19, v21
	ds_bpermute_b32 v0, v19, v0
	ds_bpermute_b32 v1, v19, v1
	s_mov_b32 s18, exec_lo
	s_wait_dscnt 0x2
	v_cmpx_ne_u32_e32 0, v10
	s_cbranch_execz .LBB19_49
; %bb.48:                               ;   in Loop: Header=BB19_3 Depth=1
	s_wait_dscnt 0x0
	v_cmp_gt_f64_e64 s3, v[8:9], v[0:1]
	v_cmp_eq_f64_e64 s5, v[8:9], v[0:1]
	v_cmp_eq_u32_e64 s4, 0, v21
	s_or_b32 s3, s4, s3
	s_delay_alu instid0(SALU_CYCLE_1) | instskip(SKIP_1) | instid1(VALU_DEP_2)
	v_dual_cndmask_b32 v8, v8, v0, s3 :: v_dual_min_i32 v11, v10, v21
	v_cndmask_b32_e64 v9, v9, v1, s3
	v_cndmask_b32_e64 v11, v21, v11, s5
	s_delay_alu instid0(VALU_DEP_1)
	v_cndmask_b32_e64 v21, v11, v10, s3
.LBB19_49:                              ;   in Loop: Header=BB19_3 Depth=1
	s_or_b32 exec_lo, exec_lo, s18
	s_wait_dscnt 0x0
	v_mov_b64_e32 v[0:1], v[8:9]
	s_or_b32 exec_lo, exec_lo, s17
	s_and_saveexec_b32 s3, s2
	s_cbranch_execz .LBB19_2
.LBB19_50:                              ;   in Loop: Header=BB19_3 Depth=1
	s_lshl_b64 s[4:5], s[6:7], 4
	s_delay_alu instid0(SALU_CYCLE_1)
	s_add_nc_u64 s[4:5], s[12:13], s[4:5]
	s_wait_dscnt 0x1
	global_store_b32 v3, v21, s[4:5]
	s_wait_dscnt 0x0
	global_store_b64 v3, v[0:1], s[4:5] offset:8
	s_branch .LBB19_2
.LBB19_51:
	s_endpgm
	.section	.rodata,"a",@progbits
	.p2align	6, 0x0
	.amdhsa_kernel _ZL32rocblas_iamax_iamin_kernel_part1ILi1024E23rocblas_fetch_amax_aminIdE19rocblas_reduce_aminPKPK19rocblas_complex_numIdE21rocblas_index_value_tIdEEviiT2_liliPT3_
		.amdhsa_group_segment_fixed_size 512
		.amdhsa_private_segment_fixed_size 0
		.amdhsa_kernarg_size 56
		.amdhsa_user_sgpr_count 2
		.amdhsa_user_sgpr_dispatch_ptr 0
		.amdhsa_user_sgpr_queue_ptr 0
		.amdhsa_user_sgpr_kernarg_segment_ptr 1
		.amdhsa_user_sgpr_dispatch_id 0
		.amdhsa_user_sgpr_kernarg_preload_length 0
		.amdhsa_user_sgpr_kernarg_preload_offset 0
		.amdhsa_user_sgpr_private_segment_size 0
		.amdhsa_wavefront_size32 1
		.amdhsa_uses_dynamic_stack 0
		.amdhsa_enable_private_segment 0
		.amdhsa_system_sgpr_workgroup_id_x 1
		.amdhsa_system_sgpr_workgroup_id_y 0
		.amdhsa_system_sgpr_workgroup_id_z 1
		.amdhsa_system_sgpr_workgroup_info 0
		.amdhsa_system_vgpr_workitem_id 0
		.amdhsa_next_free_vgpr 23
		.amdhsa_next_free_sgpr 19
		.amdhsa_named_barrier_count 0
		.amdhsa_reserve_vcc 1
		.amdhsa_float_round_mode_32 0
		.amdhsa_float_round_mode_16_64 0
		.amdhsa_float_denorm_mode_32 3
		.amdhsa_float_denorm_mode_16_64 3
		.amdhsa_fp16_overflow 0
		.amdhsa_memory_ordered 1
		.amdhsa_forward_progress 1
		.amdhsa_inst_pref_size 18
		.amdhsa_round_robin_scheduling 0
		.amdhsa_exception_fp_ieee_invalid_op 0
		.amdhsa_exception_fp_denorm_src 0
		.amdhsa_exception_fp_ieee_div_zero 0
		.amdhsa_exception_fp_ieee_overflow 0
		.amdhsa_exception_fp_ieee_underflow 0
		.amdhsa_exception_fp_ieee_inexact 0
		.amdhsa_exception_int_div_zero 0
	.end_amdhsa_kernel
	.section	.text._ZL32rocblas_iamax_iamin_kernel_part1ILi1024E23rocblas_fetch_amax_aminIdE19rocblas_reduce_aminPKPK19rocblas_complex_numIdE21rocblas_index_value_tIdEEviiT2_liliPT3_,"axG",@progbits,_ZL32rocblas_iamax_iamin_kernel_part1ILi1024E23rocblas_fetch_amax_aminIdE19rocblas_reduce_aminPKPK19rocblas_complex_numIdE21rocblas_index_value_tIdEEviiT2_liliPT3_,comdat
.Lfunc_end19:
	.size	_ZL32rocblas_iamax_iamin_kernel_part1ILi1024E23rocblas_fetch_amax_aminIdE19rocblas_reduce_aminPKPK19rocblas_complex_numIdE21rocblas_index_value_tIdEEviiT2_liliPT3_, .Lfunc_end19-_ZL32rocblas_iamax_iamin_kernel_part1ILi1024E23rocblas_fetch_amax_aminIdE19rocblas_reduce_aminPKPK19rocblas_complex_numIdE21rocblas_index_value_tIdEEviiT2_liliPT3_
                                        ; -- End function
	.set _ZL32rocblas_iamax_iamin_kernel_part1ILi1024E23rocblas_fetch_amax_aminIdE19rocblas_reduce_aminPKPK19rocblas_complex_numIdE21rocblas_index_value_tIdEEviiT2_liliPT3_.num_vgpr, 23
	.set _ZL32rocblas_iamax_iamin_kernel_part1ILi1024E23rocblas_fetch_amax_aminIdE19rocblas_reduce_aminPKPK19rocblas_complex_numIdE21rocblas_index_value_tIdEEviiT2_liliPT3_.num_agpr, 0
	.set _ZL32rocblas_iamax_iamin_kernel_part1ILi1024E23rocblas_fetch_amax_aminIdE19rocblas_reduce_aminPKPK19rocblas_complex_numIdE21rocblas_index_value_tIdEEviiT2_liliPT3_.numbered_sgpr, 19
	.set _ZL32rocblas_iamax_iamin_kernel_part1ILi1024E23rocblas_fetch_amax_aminIdE19rocblas_reduce_aminPKPK19rocblas_complex_numIdE21rocblas_index_value_tIdEEviiT2_liliPT3_.num_named_barrier, 0
	.set _ZL32rocblas_iamax_iamin_kernel_part1ILi1024E23rocblas_fetch_amax_aminIdE19rocblas_reduce_aminPKPK19rocblas_complex_numIdE21rocblas_index_value_tIdEEviiT2_liliPT3_.private_seg_size, 0
	.set _ZL32rocblas_iamax_iamin_kernel_part1ILi1024E23rocblas_fetch_amax_aminIdE19rocblas_reduce_aminPKPK19rocblas_complex_numIdE21rocblas_index_value_tIdEEviiT2_liliPT3_.uses_vcc, 1
	.set _ZL32rocblas_iamax_iamin_kernel_part1ILi1024E23rocblas_fetch_amax_aminIdE19rocblas_reduce_aminPKPK19rocblas_complex_numIdE21rocblas_index_value_tIdEEviiT2_liliPT3_.uses_flat_scratch, 0
	.set _ZL32rocblas_iamax_iamin_kernel_part1ILi1024E23rocblas_fetch_amax_aminIdE19rocblas_reduce_aminPKPK19rocblas_complex_numIdE21rocblas_index_value_tIdEEviiT2_liliPT3_.has_dyn_sized_stack, 0
	.set _ZL32rocblas_iamax_iamin_kernel_part1ILi1024E23rocblas_fetch_amax_aminIdE19rocblas_reduce_aminPKPK19rocblas_complex_numIdE21rocblas_index_value_tIdEEviiT2_liliPT3_.has_recursion, 0
	.set _ZL32rocblas_iamax_iamin_kernel_part1ILi1024E23rocblas_fetch_amax_aminIdE19rocblas_reduce_aminPKPK19rocblas_complex_numIdE21rocblas_index_value_tIdEEviiT2_liliPT3_.has_indirect_call, 0
	.section	.AMDGPU.csdata,"",@progbits
; Kernel info:
; codeLenInByte = 2264
; TotalNumSgprs: 21
; NumVgprs: 23
; ScratchSize: 0
; MemoryBound: 0
; FloatMode: 240
; IeeeMode: 1
; LDSByteSize: 512 bytes/workgroup (compile time only)
; SGPRBlocks: 0
; VGPRBlocks: 1
; NumSGPRsForWavesPerEU: 21
; NumVGPRsForWavesPerEU: 23
; NamedBarCnt: 0
; Occupancy: 16
; WaveLimiterHint : 1
; COMPUTE_PGM_RSRC2:SCRATCH_EN: 0
; COMPUTE_PGM_RSRC2:USER_SGPR: 2
; COMPUTE_PGM_RSRC2:TRAP_HANDLER: 0
; COMPUTE_PGM_RSRC2:TGID_X_EN: 1
; COMPUTE_PGM_RSRC2:TGID_Y_EN: 0
; COMPUTE_PGM_RSRC2:TGID_Z_EN: 1
; COMPUTE_PGM_RSRC2:TIDIG_COMP_CNT: 0
	.section	.AMDGPU.gpr_maximums,"",@progbits
	.set amdgpu.max_num_vgpr, 0
	.set amdgpu.max_num_agpr, 0
	.set amdgpu.max_num_sgpr, 0
	.section	.AMDGPU.csdata,"",@progbits
	.type	__hip_cuid_dc6a7cd45de27bbc,@object ; @__hip_cuid_dc6a7cd45de27bbc
	.section	.bss,"aw",@nobits
	.globl	__hip_cuid_dc6a7cd45de27bbc
__hip_cuid_dc6a7cd45de27bbc:
	.byte	0                               ; 0x0
	.size	__hip_cuid_dc6a7cd45de27bbc, 1

	.ident	"AMD clang version 22.0.0git (https://github.com/RadeonOpenCompute/llvm-project roc-7.2.4 26084 f58b06dce1f9c15707c5f808fd002e18c2accf7e)"
	.section	".note.GNU-stack","",@progbits
	.addrsig
	.addrsig_sym __hip_cuid_dc6a7cd45de27bbc
	.amdgpu_metadata
---
amdhsa.kernels:
  - .args:
      - .offset:         0
        .size:           4
        .value_kind:     by_value
      - .offset:         4
        .size:           4
        .value_kind:     by_value
      - .address_space:  global
        .offset:         8
        .size:           8
        .value_kind:     global_buffer
      - .offset:         16
        .size:           8
        .value_kind:     by_value
      - .offset:         24
        .size:           4
        .value_kind:     by_value
      - .offset:         32
        .size:           8
        .value_kind:     by_value
      - .offset:         40
        .size:           4
        .value_kind:     by_value
      - .address_space:  global
        .offset:         48
        .size:           8
        .value_kind:     global_buffer
    .group_segment_fixed_size: 256
    .kernarg_segment_align: 8
    .kernarg_segment_size: 56
    .language:       OpenCL C
    .language_version:
      - 2
      - 0
    .max_flat_workgroup_size: 1024
    .name:           _ZL32rocblas_iamax_iamin_kernel_part1ILi1024E23rocblas_fetch_amax_aminIfE19rocblas_reduce_amaxPKf21rocblas_index_value_tIfEEviiT2_liliPT3_
    .private_segment_fixed_size: 0
    .sgpr_count:     20
    .sgpr_spill_count: 0
    .symbol:         _ZL32rocblas_iamax_iamin_kernel_part1ILi1024E23rocblas_fetch_amax_aminIfE19rocblas_reduce_amaxPKf21rocblas_index_value_tIfEEviiT2_liliPT3_.kd
    .uniform_work_group_size: 1
    .uses_dynamic_stack: false
    .vgpr_count:     18
    .vgpr_spill_count: 0
    .wavefront_size: 32
  - .args:
      - .offset:         0
        .size:           4
        .value_kind:     by_value
      - .address_space:  global
        .offset:         8
        .size:           8
        .value_kind:     global_buffer
      - .address_space:  global
        .offset:         16
        .size:           8
        .value_kind:     global_buffer
    .group_segment_fixed_size: 256
    .kernarg_segment_align: 8
    .kernarg_segment_size: 24
    .language:       OpenCL C
    .language_version:
      - 2
      - 0
    .max_flat_workgroup_size: 1024
    .name:           _ZL32rocblas_iamax_iamin_kernel_part2ILi1024E19rocblas_reduce_amax21rocblas_index_value_tIfEiEviPT1_PT2_
    .private_segment_fixed_size: 0
    .sgpr_count:     13
    .sgpr_spill_count: 0
    .symbol:         _ZL32rocblas_iamax_iamin_kernel_part2ILi1024E19rocblas_reduce_amax21rocblas_index_value_tIfEiEviPT1_PT2_.kd
    .uniform_work_group_size: 1
    .uses_dynamic_stack: false
    .vgpr_count:     14
    .vgpr_spill_count: 0
    .wavefront_size: 32
  - .args:
      - .offset:         0
        .size:           4
        .value_kind:     by_value
      - .offset:         4
        .size:           4
        .value_kind:     by_value
      - .address_space:  global
        .offset:         8
        .size:           8
        .value_kind:     global_buffer
      - .offset:         16
        .size:           8
        .value_kind:     by_value
      - .offset:         24
        .size:           4
        .value_kind:     by_value
      - .offset:         32
        .size:           8
        .value_kind:     by_value
      - .offset:         40
        .size:           4
        .value_kind:     by_value
      - .address_space:  global
        .offset:         48
        .size:           8
        .value_kind:     global_buffer
    .group_segment_fixed_size: 512
    .kernarg_segment_align: 8
    .kernarg_segment_size: 56
    .language:       OpenCL C
    .language_version:
      - 2
      - 0
    .max_flat_workgroup_size: 1024
    .name:           _ZL32rocblas_iamax_iamin_kernel_part1ILi1024E23rocblas_fetch_amax_aminIdE19rocblas_reduce_amaxPKd21rocblas_index_value_tIdEEviiT2_liliPT3_
    .private_segment_fixed_size: 0
    .sgpr_count:     20
    .sgpr_spill_count: 0
    .symbol:         _ZL32rocblas_iamax_iamin_kernel_part1ILi1024E23rocblas_fetch_amax_aminIdE19rocblas_reduce_amaxPKd21rocblas_index_value_tIdEEviiT2_liliPT3_.kd
    .uniform_work_group_size: 1
    .uses_dynamic_stack: false
    .vgpr_count:     23
    .vgpr_spill_count: 0
    .wavefront_size: 32
  - .args:
      - .offset:         0
        .size:           4
        .value_kind:     by_value
      - .address_space:  global
        .offset:         8
        .size:           8
        .value_kind:     global_buffer
      - .address_space:  global
        .offset:         16
        .size:           8
        .value_kind:     global_buffer
    .group_segment_fixed_size: 512
    .kernarg_segment_align: 8
    .kernarg_segment_size: 24
    .language:       OpenCL C
    .language_version:
      - 2
      - 0
    .max_flat_workgroup_size: 1024
    .name:           _ZL32rocblas_iamax_iamin_kernel_part2ILi1024E19rocblas_reduce_amax21rocblas_index_value_tIdEiEviPT1_PT2_
    .private_segment_fixed_size: 0
    .sgpr_count:     13
    .sgpr_spill_count: 0
    .symbol:         _ZL32rocblas_iamax_iamin_kernel_part2ILi1024E19rocblas_reduce_amax21rocblas_index_value_tIdEiEviPT1_PT2_.kd
    .uniform_work_group_size: 1
    .uses_dynamic_stack: false
    .vgpr_count:     18
    .vgpr_spill_count: 0
    .wavefront_size: 32
  - .args:
      - .offset:         0
        .size:           4
        .value_kind:     by_value
      - .offset:         4
        .size:           4
        .value_kind:     by_value
      - .address_space:  global
        .offset:         8
        .size:           8
        .value_kind:     global_buffer
      - .offset:         16
        .size:           8
        .value_kind:     by_value
      - .offset:         24
        .size:           4
        .value_kind:     by_value
      - .offset:         32
        .size:           8
        .value_kind:     by_value
      - .offset:         40
        .size:           4
        .value_kind:     by_value
      - .address_space:  global
        .offset:         48
        .size:           8
        .value_kind:     global_buffer
    .group_segment_fixed_size: 256
    .kernarg_segment_align: 8
    .kernarg_segment_size: 56
    .language:       OpenCL C
    .language_version:
      - 2
      - 0
    .max_flat_workgroup_size: 1024
    .name:           _ZL32rocblas_iamax_iamin_kernel_part1ILi1024E23rocblas_fetch_amax_aminIfE19rocblas_reduce_amaxPK19rocblas_complex_numIfE21rocblas_index_value_tIfEEviiT2_liliPT3_
    .private_segment_fixed_size: 0
    .sgpr_count:     20
    .sgpr_spill_count: 0
    .symbol:         _ZL32rocblas_iamax_iamin_kernel_part1ILi1024E23rocblas_fetch_amax_aminIfE19rocblas_reduce_amaxPK19rocblas_complex_numIfE21rocblas_index_value_tIfEEviiT2_liliPT3_.kd
    .uniform_work_group_size: 1
    .uses_dynamic_stack: false
    .vgpr_count:     18
    .vgpr_spill_count: 0
    .wavefront_size: 32
  - .args:
      - .offset:         0
        .size:           4
        .value_kind:     by_value
      - .offset:         4
        .size:           4
        .value_kind:     by_value
      - .address_space:  global
        .offset:         8
        .size:           8
        .value_kind:     global_buffer
      - .offset:         16
        .size:           8
        .value_kind:     by_value
      - .offset:         24
        .size:           4
        .value_kind:     by_value
      - .offset:         32
        .size:           8
        .value_kind:     by_value
      - .offset:         40
        .size:           4
        .value_kind:     by_value
      - .address_space:  global
        .offset:         48
        .size:           8
        .value_kind:     global_buffer
    .group_segment_fixed_size: 512
    .kernarg_segment_align: 8
    .kernarg_segment_size: 56
    .language:       OpenCL C
    .language_version:
      - 2
      - 0
    .max_flat_workgroup_size: 1024
    .name:           _ZL32rocblas_iamax_iamin_kernel_part1ILi1024E23rocblas_fetch_amax_aminIdE19rocblas_reduce_amaxPK19rocblas_complex_numIdE21rocblas_index_value_tIdEEviiT2_liliPT3_
    .private_segment_fixed_size: 0
    .sgpr_count:     20
    .sgpr_spill_count: 0
    .symbol:         _ZL32rocblas_iamax_iamin_kernel_part1ILi1024E23rocblas_fetch_amax_aminIdE19rocblas_reduce_amaxPK19rocblas_complex_numIdE21rocblas_index_value_tIdEEviiT2_liliPT3_.kd
    .uniform_work_group_size: 1
    .uses_dynamic_stack: false
    .vgpr_count:     23
    .vgpr_spill_count: 0
    .wavefront_size: 32
  - .args:
      - .offset:         0
        .size:           4
        .value_kind:     by_value
      - .offset:         4
        .size:           4
        .value_kind:     by_value
      - .address_space:  global
        .offset:         8
        .size:           8
        .value_kind:     global_buffer
      - .offset:         16
        .size:           8
        .value_kind:     by_value
      - .offset:         24
        .size:           4
        .value_kind:     by_value
      - .offset:         32
        .size:           8
        .value_kind:     by_value
      - .offset:         40
        .size:           4
        .value_kind:     by_value
      - .address_space:  global
        .offset:         48
        .size:           8
        .value_kind:     global_buffer
    .group_segment_fixed_size: 256
    .kernarg_segment_align: 8
    .kernarg_segment_size: 56
    .language:       OpenCL C
    .language_version:
      - 2
      - 0
    .max_flat_workgroup_size: 1024
    .name:           _ZL32rocblas_iamax_iamin_kernel_part1ILi1024E23rocblas_fetch_amax_aminIfE19rocblas_reduce_amaxPKPKf21rocblas_index_value_tIfEEviiT2_liliPT3_
    .private_segment_fixed_size: 0
    .sgpr_count:     20
    .sgpr_spill_count: 0
    .symbol:         _ZL32rocblas_iamax_iamin_kernel_part1ILi1024E23rocblas_fetch_amax_aminIfE19rocblas_reduce_amaxPKPKf21rocblas_index_value_tIfEEviiT2_liliPT3_.kd
    .uniform_work_group_size: 1
    .uses_dynamic_stack: false
    .vgpr_count:     18
    .vgpr_spill_count: 0
    .wavefront_size: 32
  - .args:
      - .offset:         0
        .size:           4
        .value_kind:     by_value
      - .offset:         4
        .size:           4
        .value_kind:     by_value
      - .address_space:  global
        .offset:         8
        .size:           8
        .value_kind:     global_buffer
      - .offset:         16
        .size:           8
        .value_kind:     by_value
      - .offset:         24
        .size:           4
        .value_kind:     by_value
      - .offset:         32
        .size:           8
        .value_kind:     by_value
      - .offset:         40
        .size:           4
        .value_kind:     by_value
      - .address_space:  global
        .offset:         48
        .size:           8
        .value_kind:     global_buffer
    .group_segment_fixed_size: 512
    .kernarg_segment_align: 8
    .kernarg_segment_size: 56
    .language:       OpenCL C
    .language_version:
      - 2
      - 0
    .max_flat_workgroup_size: 1024
    .name:           _ZL32rocblas_iamax_iamin_kernel_part1ILi1024E23rocblas_fetch_amax_aminIdE19rocblas_reduce_amaxPKPKd21rocblas_index_value_tIdEEviiT2_liliPT3_
    .private_segment_fixed_size: 0
    .sgpr_count:     21
    .sgpr_spill_count: 0
    .symbol:         _ZL32rocblas_iamax_iamin_kernel_part1ILi1024E23rocblas_fetch_amax_aminIdE19rocblas_reduce_amaxPKPKd21rocblas_index_value_tIdEEviiT2_liliPT3_.kd
    .uniform_work_group_size: 1
    .uses_dynamic_stack: false
    .vgpr_count:     23
    .vgpr_spill_count: 0
    .wavefront_size: 32
  - .args:
      - .offset:         0
        .size:           4
        .value_kind:     by_value
      - .offset:         4
        .size:           4
        .value_kind:     by_value
      - .address_space:  global
        .offset:         8
        .size:           8
        .value_kind:     global_buffer
      - .offset:         16
        .size:           8
        .value_kind:     by_value
      - .offset:         24
        .size:           4
        .value_kind:     by_value
      - .offset:         32
        .size:           8
        .value_kind:     by_value
      - .offset:         40
        .size:           4
        .value_kind:     by_value
      - .address_space:  global
        .offset:         48
        .size:           8
        .value_kind:     global_buffer
    .group_segment_fixed_size: 256
    .kernarg_segment_align: 8
    .kernarg_segment_size: 56
    .language:       OpenCL C
    .language_version:
      - 2
      - 0
    .max_flat_workgroup_size: 1024
    .name:           _ZL32rocblas_iamax_iamin_kernel_part1ILi1024E23rocblas_fetch_amax_aminIfE19rocblas_reduce_amaxPKPK19rocblas_complex_numIfE21rocblas_index_value_tIfEEviiT2_liliPT3_
    .private_segment_fixed_size: 0
    .sgpr_count:     20
    .sgpr_spill_count: 0
    .symbol:         _ZL32rocblas_iamax_iamin_kernel_part1ILi1024E23rocblas_fetch_amax_aminIfE19rocblas_reduce_amaxPKPK19rocblas_complex_numIfE21rocblas_index_value_tIfEEviiT2_liliPT3_.kd
    .uniform_work_group_size: 1
    .uses_dynamic_stack: false
    .vgpr_count:     18
    .vgpr_spill_count: 0
    .wavefront_size: 32
  - .args:
      - .offset:         0
        .size:           4
        .value_kind:     by_value
      - .offset:         4
        .size:           4
        .value_kind:     by_value
      - .address_space:  global
        .offset:         8
        .size:           8
        .value_kind:     global_buffer
      - .offset:         16
        .size:           8
        .value_kind:     by_value
      - .offset:         24
        .size:           4
        .value_kind:     by_value
      - .offset:         32
        .size:           8
        .value_kind:     by_value
      - .offset:         40
        .size:           4
        .value_kind:     by_value
      - .address_space:  global
        .offset:         48
        .size:           8
        .value_kind:     global_buffer
    .group_segment_fixed_size: 512
    .kernarg_segment_align: 8
    .kernarg_segment_size: 56
    .language:       OpenCL C
    .language_version:
      - 2
      - 0
    .max_flat_workgroup_size: 1024
    .name:           _ZL32rocblas_iamax_iamin_kernel_part1ILi1024E23rocblas_fetch_amax_aminIdE19rocblas_reduce_amaxPKPK19rocblas_complex_numIdE21rocblas_index_value_tIdEEviiT2_liliPT3_
    .private_segment_fixed_size: 0
    .sgpr_count:     21
    .sgpr_spill_count: 0
    .symbol:         _ZL32rocblas_iamax_iamin_kernel_part1ILi1024E23rocblas_fetch_amax_aminIdE19rocblas_reduce_amaxPKPK19rocblas_complex_numIdE21rocblas_index_value_tIdEEviiT2_liliPT3_.kd
    .uniform_work_group_size: 1
    .uses_dynamic_stack: false
    .vgpr_count:     23
    .vgpr_spill_count: 0
    .wavefront_size: 32
  - .args:
      - .offset:         0
        .size:           4
        .value_kind:     by_value
      - .offset:         4
        .size:           4
        .value_kind:     by_value
      - .address_space:  global
        .offset:         8
        .size:           8
        .value_kind:     global_buffer
      - .offset:         16
        .size:           8
        .value_kind:     by_value
      - .offset:         24
        .size:           4
        .value_kind:     by_value
      - .offset:         32
        .size:           8
        .value_kind:     by_value
      - .offset:         40
        .size:           4
        .value_kind:     by_value
      - .address_space:  global
        .offset:         48
        .size:           8
        .value_kind:     global_buffer
    .group_segment_fixed_size: 256
    .kernarg_segment_align: 8
    .kernarg_segment_size: 56
    .language:       OpenCL C
    .language_version:
      - 2
      - 0
    .max_flat_workgroup_size: 1024
    .name:           _ZL32rocblas_iamax_iamin_kernel_part1ILi1024E23rocblas_fetch_amax_aminIfE19rocblas_reduce_aminPKf21rocblas_index_value_tIfEEviiT2_liliPT3_
    .private_segment_fixed_size: 0
    .sgpr_count:     20
    .sgpr_spill_count: 0
    .symbol:         _ZL32rocblas_iamax_iamin_kernel_part1ILi1024E23rocblas_fetch_amax_aminIfE19rocblas_reduce_aminPKf21rocblas_index_value_tIfEEviiT2_liliPT3_.kd
    .uniform_work_group_size: 1
    .uses_dynamic_stack: false
    .vgpr_count:     18
    .vgpr_spill_count: 0
    .wavefront_size: 32
  - .args:
      - .offset:         0
        .size:           4
        .value_kind:     by_value
      - .address_space:  global
        .offset:         8
        .size:           8
        .value_kind:     global_buffer
      - .address_space:  global
        .offset:         16
        .size:           8
        .value_kind:     global_buffer
    .group_segment_fixed_size: 256
    .kernarg_segment_align: 8
    .kernarg_segment_size: 24
    .language:       OpenCL C
    .language_version:
      - 2
      - 0
    .max_flat_workgroup_size: 1024
    .name:           _ZL32rocblas_iamax_iamin_kernel_part2ILi1024E19rocblas_reduce_amin21rocblas_index_value_tIfEiEviPT1_PT2_
    .private_segment_fixed_size: 0
    .sgpr_count:     13
    .sgpr_spill_count: 0
    .symbol:         _ZL32rocblas_iamax_iamin_kernel_part2ILi1024E19rocblas_reduce_amin21rocblas_index_value_tIfEiEviPT1_PT2_.kd
    .uniform_work_group_size: 1
    .uses_dynamic_stack: false
    .vgpr_count:     14
    .vgpr_spill_count: 0
    .wavefront_size: 32
  - .args:
      - .offset:         0
        .size:           4
        .value_kind:     by_value
      - .offset:         4
        .size:           4
        .value_kind:     by_value
      - .address_space:  global
        .offset:         8
        .size:           8
        .value_kind:     global_buffer
      - .offset:         16
        .size:           8
        .value_kind:     by_value
      - .offset:         24
        .size:           4
        .value_kind:     by_value
      - .offset:         32
        .size:           8
        .value_kind:     by_value
      - .offset:         40
        .size:           4
        .value_kind:     by_value
      - .address_space:  global
        .offset:         48
        .size:           8
        .value_kind:     global_buffer
    .group_segment_fixed_size: 512
    .kernarg_segment_align: 8
    .kernarg_segment_size: 56
    .language:       OpenCL C
    .language_version:
      - 2
      - 0
    .max_flat_workgroup_size: 1024
    .name:           _ZL32rocblas_iamax_iamin_kernel_part1ILi1024E23rocblas_fetch_amax_aminIdE19rocblas_reduce_aminPKd21rocblas_index_value_tIdEEviiT2_liliPT3_
    .private_segment_fixed_size: 0
    .sgpr_count:     20
    .sgpr_spill_count: 0
    .symbol:         _ZL32rocblas_iamax_iamin_kernel_part1ILi1024E23rocblas_fetch_amax_aminIdE19rocblas_reduce_aminPKd21rocblas_index_value_tIdEEviiT2_liliPT3_.kd
    .uniform_work_group_size: 1
    .uses_dynamic_stack: false
    .vgpr_count:     23
    .vgpr_spill_count: 0
    .wavefront_size: 32
  - .args:
      - .offset:         0
        .size:           4
        .value_kind:     by_value
      - .address_space:  global
        .offset:         8
        .size:           8
        .value_kind:     global_buffer
      - .address_space:  global
        .offset:         16
        .size:           8
        .value_kind:     global_buffer
    .group_segment_fixed_size: 512
    .kernarg_segment_align: 8
    .kernarg_segment_size: 24
    .language:       OpenCL C
    .language_version:
      - 2
      - 0
    .max_flat_workgroup_size: 1024
    .name:           _ZL32rocblas_iamax_iamin_kernel_part2ILi1024E19rocblas_reduce_amin21rocblas_index_value_tIdEiEviPT1_PT2_
    .private_segment_fixed_size: 0
    .sgpr_count:     13
    .sgpr_spill_count: 0
    .symbol:         _ZL32rocblas_iamax_iamin_kernel_part2ILi1024E19rocblas_reduce_amin21rocblas_index_value_tIdEiEviPT1_PT2_.kd
    .uniform_work_group_size: 1
    .uses_dynamic_stack: false
    .vgpr_count:     18
    .vgpr_spill_count: 0
    .wavefront_size: 32
  - .args:
      - .offset:         0
        .size:           4
        .value_kind:     by_value
      - .offset:         4
        .size:           4
        .value_kind:     by_value
      - .address_space:  global
        .offset:         8
        .size:           8
        .value_kind:     global_buffer
      - .offset:         16
        .size:           8
        .value_kind:     by_value
      - .offset:         24
        .size:           4
        .value_kind:     by_value
      - .offset:         32
        .size:           8
        .value_kind:     by_value
      - .offset:         40
        .size:           4
        .value_kind:     by_value
      - .address_space:  global
        .offset:         48
        .size:           8
        .value_kind:     global_buffer
    .group_segment_fixed_size: 256
    .kernarg_segment_align: 8
    .kernarg_segment_size: 56
    .language:       OpenCL C
    .language_version:
      - 2
      - 0
    .max_flat_workgroup_size: 1024
    .name:           _ZL32rocblas_iamax_iamin_kernel_part1ILi1024E23rocblas_fetch_amax_aminIfE19rocblas_reduce_aminPK19rocblas_complex_numIfE21rocblas_index_value_tIfEEviiT2_liliPT3_
    .private_segment_fixed_size: 0
    .sgpr_count:     20
    .sgpr_spill_count: 0
    .symbol:         _ZL32rocblas_iamax_iamin_kernel_part1ILi1024E23rocblas_fetch_amax_aminIfE19rocblas_reduce_aminPK19rocblas_complex_numIfE21rocblas_index_value_tIfEEviiT2_liliPT3_.kd
    .uniform_work_group_size: 1
    .uses_dynamic_stack: false
    .vgpr_count:     18
    .vgpr_spill_count: 0
    .wavefront_size: 32
  - .args:
      - .offset:         0
        .size:           4
        .value_kind:     by_value
      - .offset:         4
        .size:           4
        .value_kind:     by_value
      - .address_space:  global
        .offset:         8
        .size:           8
        .value_kind:     global_buffer
      - .offset:         16
        .size:           8
        .value_kind:     by_value
      - .offset:         24
        .size:           4
        .value_kind:     by_value
      - .offset:         32
        .size:           8
        .value_kind:     by_value
      - .offset:         40
        .size:           4
        .value_kind:     by_value
      - .address_space:  global
        .offset:         48
        .size:           8
        .value_kind:     global_buffer
    .group_segment_fixed_size: 512
    .kernarg_segment_align: 8
    .kernarg_segment_size: 56
    .language:       OpenCL C
    .language_version:
      - 2
      - 0
    .max_flat_workgroup_size: 1024
    .name:           _ZL32rocblas_iamax_iamin_kernel_part1ILi1024E23rocblas_fetch_amax_aminIdE19rocblas_reduce_aminPK19rocblas_complex_numIdE21rocblas_index_value_tIdEEviiT2_liliPT3_
    .private_segment_fixed_size: 0
    .sgpr_count:     20
    .sgpr_spill_count: 0
    .symbol:         _ZL32rocblas_iamax_iamin_kernel_part1ILi1024E23rocblas_fetch_amax_aminIdE19rocblas_reduce_aminPK19rocblas_complex_numIdE21rocblas_index_value_tIdEEviiT2_liliPT3_.kd
    .uniform_work_group_size: 1
    .uses_dynamic_stack: false
    .vgpr_count:     23
    .vgpr_spill_count: 0
    .wavefront_size: 32
  - .args:
      - .offset:         0
        .size:           4
        .value_kind:     by_value
      - .offset:         4
        .size:           4
        .value_kind:     by_value
      - .address_space:  global
        .offset:         8
        .size:           8
        .value_kind:     global_buffer
      - .offset:         16
        .size:           8
        .value_kind:     by_value
      - .offset:         24
        .size:           4
        .value_kind:     by_value
      - .offset:         32
        .size:           8
        .value_kind:     by_value
      - .offset:         40
        .size:           4
        .value_kind:     by_value
      - .address_space:  global
        .offset:         48
        .size:           8
        .value_kind:     global_buffer
    .group_segment_fixed_size: 256
    .kernarg_segment_align: 8
    .kernarg_segment_size: 56
    .language:       OpenCL C
    .language_version:
      - 2
      - 0
    .max_flat_workgroup_size: 1024
    .name:           _ZL32rocblas_iamax_iamin_kernel_part1ILi1024E23rocblas_fetch_amax_aminIfE19rocblas_reduce_aminPKPKf21rocblas_index_value_tIfEEviiT2_liliPT3_
    .private_segment_fixed_size: 0
    .sgpr_count:     20
    .sgpr_spill_count: 0
    .symbol:         _ZL32rocblas_iamax_iamin_kernel_part1ILi1024E23rocblas_fetch_amax_aminIfE19rocblas_reduce_aminPKPKf21rocblas_index_value_tIfEEviiT2_liliPT3_.kd
    .uniform_work_group_size: 1
    .uses_dynamic_stack: false
    .vgpr_count:     18
    .vgpr_spill_count: 0
    .wavefront_size: 32
  - .args:
      - .offset:         0
        .size:           4
        .value_kind:     by_value
      - .offset:         4
        .size:           4
        .value_kind:     by_value
      - .address_space:  global
        .offset:         8
        .size:           8
        .value_kind:     global_buffer
      - .offset:         16
        .size:           8
        .value_kind:     by_value
      - .offset:         24
        .size:           4
        .value_kind:     by_value
      - .offset:         32
        .size:           8
        .value_kind:     by_value
      - .offset:         40
        .size:           4
        .value_kind:     by_value
      - .address_space:  global
        .offset:         48
        .size:           8
        .value_kind:     global_buffer
    .group_segment_fixed_size: 512
    .kernarg_segment_align: 8
    .kernarg_segment_size: 56
    .language:       OpenCL C
    .language_version:
      - 2
      - 0
    .max_flat_workgroup_size: 1024
    .name:           _ZL32rocblas_iamax_iamin_kernel_part1ILi1024E23rocblas_fetch_amax_aminIdE19rocblas_reduce_aminPKPKd21rocblas_index_value_tIdEEviiT2_liliPT3_
    .private_segment_fixed_size: 0
    .sgpr_count:     21
    .sgpr_spill_count: 0
    .symbol:         _ZL32rocblas_iamax_iamin_kernel_part1ILi1024E23rocblas_fetch_amax_aminIdE19rocblas_reduce_aminPKPKd21rocblas_index_value_tIdEEviiT2_liliPT3_.kd
    .uniform_work_group_size: 1
    .uses_dynamic_stack: false
    .vgpr_count:     23
    .vgpr_spill_count: 0
    .wavefront_size: 32
  - .args:
      - .offset:         0
        .size:           4
        .value_kind:     by_value
      - .offset:         4
        .size:           4
        .value_kind:     by_value
      - .address_space:  global
        .offset:         8
        .size:           8
        .value_kind:     global_buffer
      - .offset:         16
        .size:           8
        .value_kind:     by_value
      - .offset:         24
        .size:           4
        .value_kind:     by_value
      - .offset:         32
        .size:           8
        .value_kind:     by_value
      - .offset:         40
        .size:           4
        .value_kind:     by_value
      - .address_space:  global
        .offset:         48
        .size:           8
        .value_kind:     global_buffer
    .group_segment_fixed_size: 256
    .kernarg_segment_align: 8
    .kernarg_segment_size: 56
    .language:       OpenCL C
    .language_version:
      - 2
      - 0
    .max_flat_workgroup_size: 1024
    .name:           _ZL32rocblas_iamax_iamin_kernel_part1ILi1024E23rocblas_fetch_amax_aminIfE19rocblas_reduce_aminPKPK19rocblas_complex_numIfE21rocblas_index_value_tIfEEviiT2_liliPT3_
    .private_segment_fixed_size: 0
    .sgpr_count:     20
    .sgpr_spill_count: 0
    .symbol:         _ZL32rocblas_iamax_iamin_kernel_part1ILi1024E23rocblas_fetch_amax_aminIfE19rocblas_reduce_aminPKPK19rocblas_complex_numIfE21rocblas_index_value_tIfEEviiT2_liliPT3_.kd
    .uniform_work_group_size: 1
    .uses_dynamic_stack: false
    .vgpr_count:     18
    .vgpr_spill_count: 0
    .wavefront_size: 32
  - .args:
      - .offset:         0
        .size:           4
        .value_kind:     by_value
      - .offset:         4
        .size:           4
        .value_kind:     by_value
      - .address_space:  global
        .offset:         8
        .size:           8
        .value_kind:     global_buffer
      - .offset:         16
        .size:           8
        .value_kind:     by_value
      - .offset:         24
        .size:           4
        .value_kind:     by_value
      - .offset:         32
        .size:           8
        .value_kind:     by_value
      - .offset:         40
        .size:           4
        .value_kind:     by_value
      - .address_space:  global
        .offset:         48
        .size:           8
        .value_kind:     global_buffer
    .group_segment_fixed_size: 512
    .kernarg_segment_align: 8
    .kernarg_segment_size: 56
    .language:       OpenCL C
    .language_version:
      - 2
      - 0
    .max_flat_workgroup_size: 1024
    .name:           _ZL32rocblas_iamax_iamin_kernel_part1ILi1024E23rocblas_fetch_amax_aminIdE19rocblas_reduce_aminPKPK19rocblas_complex_numIdE21rocblas_index_value_tIdEEviiT2_liliPT3_
    .private_segment_fixed_size: 0
    .sgpr_count:     21
    .sgpr_spill_count: 0
    .symbol:         _ZL32rocblas_iamax_iamin_kernel_part1ILi1024E23rocblas_fetch_amax_aminIdE19rocblas_reduce_aminPKPK19rocblas_complex_numIdE21rocblas_index_value_tIdEEviiT2_liliPT3_.kd
    .uniform_work_group_size: 1
    .uses_dynamic_stack: false
    .vgpr_count:     23
    .vgpr_spill_count: 0
    .wavefront_size: 32
amdhsa.target:   amdgcn-amd-amdhsa--gfx1250
amdhsa.version:
  - 1
  - 2
...

	.end_amdgpu_metadata
